;; amdgpu-corpus repo=ROCm/composable_kernel kind=compiled arch=gfx1100 opt=O3
	.text
	.amdgcn_target "amdgcn-amd-amdhsa--gfx1100"
	.amdhsa_code_object_version 6
	.section	.text._ZN2ckL12flush_icacheEv,"axG",@progbits,_ZN2ckL12flush_icacheEv,comdat
	.globl	_ZN2ckL12flush_icacheEv         ; -- Begin function _ZN2ckL12flush_icacheEv
	.p2align	8
	.type	_ZN2ckL12flush_icacheEv,@function
_ZN2ckL12flush_icacheEv:                ; @_ZN2ckL12flush_icacheEv
; %bb.0:
	;;#ASMSTART
	s_icache_inv 
	s_nop 0 
	s_nop 0 
	;; [unrolled: 1-line block ×16, first 2 shown]
	
	;;#ASMEND
	s_endpgm
	.section	.rodata,"a",@progbits
	.p2align	6, 0x0
	.amdhsa_kernel _ZN2ckL12flush_icacheEv
		.amdhsa_group_segment_fixed_size 0
		.amdhsa_private_segment_fixed_size 0
		.amdhsa_kernarg_size 0
		.amdhsa_user_sgpr_count 15
		.amdhsa_user_sgpr_dispatch_ptr 0
		.amdhsa_user_sgpr_queue_ptr 0
		.amdhsa_user_sgpr_kernarg_segment_ptr 0
		.amdhsa_user_sgpr_dispatch_id 0
		.amdhsa_user_sgpr_private_segment_size 0
		.amdhsa_wavefront_size32 1
		.amdhsa_uses_dynamic_stack 0
		.amdhsa_enable_private_segment 0
		.amdhsa_system_sgpr_workgroup_id_x 1
		.amdhsa_system_sgpr_workgroup_id_y 0
		.amdhsa_system_sgpr_workgroup_id_z 0
		.amdhsa_system_sgpr_workgroup_info 0
		.amdhsa_system_vgpr_workitem_id 0
		.amdhsa_next_free_vgpr 1
		.amdhsa_next_free_sgpr 1
		.amdhsa_reserve_vcc 0
		.amdhsa_float_round_mode_32 0
		.amdhsa_float_round_mode_16_64 0
		.amdhsa_float_denorm_mode_32 3
		.amdhsa_float_denorm_mode_16_64 3
		.amdhsa_dx10_clamp 1
		.amdhsa_ieee_mode 1
		.amdhsa_fp16_overflow 0
		.amdhsa_workgroup_processor_mode 1
		.amdhsa_memory_ordered 1
		.amdhsa_forward_progress 0
		.amdhsa_shared_vgpr_count 0
		.amdhsa_exception_fp_ieee_invalid_op 0
		.amdhsa_exception_fp_denorm_src 0
		.amdhsa_exception_fp_ieee_div_zero 0
		.amdhsa_exception_fp_ieee_overflow 0
		.amdhsa_exception_fp_ieee_underflow 0
		.amdhsa_exception_fp_ieee_inexact 0
		.amdhsa_exception_int_div_zero 0
	.end_amdhsa_kernel
	.section	.text._ZN2ckL12flush_icacheEv,"axG",@progbits,_ZN2ckL12flush_icacheEv,comdat
.Lfunc_end0:
	.size	_ZN2ckL12flush_icacheEv, .Lfunc_end0-_ZN2ckL12flush_icacheEv
                                        ; -- End function
	.section	.AMDGPU.csdata,"",@progbits
; Kernel info:
; codeLenInByte = 344
; NumSgprs: 0
; NumVgprs: 0
; ScratchSize: 0
; MemoryBound: 0
; FloatMode: 240
; IeeeMode: 1
; LDSByteSize: 0 bytes/workgroup (compile time only)
; SGPRBlocks: 0
; VGPRBlocks: 0
; NumSGPRsForWavesPerEU: 1
; NumVGPRsForWavesPerEU: 1
; Occupancy: 16
; WaveLimiterHint : 0
; COMPUTE_PGM_RSRC2:SCRATCH_EN: 0
; COMPUTE_PGM_RSRC2:USER_SGPR: 15
; COMPUTE_PGM_RSRC2:TRAP_HANDLER: 0
; COMPUTE_PGM_RSRC2:TGID_X_EN: 1
; COMPUTE_PGM_RSRC2:TGID_Y_EN: 0
; COMPUTE_PGM_RSRC2:TGID_Z_EN: 0
; COMPUTE_PGM_RSRC2:TIDIG_COMP_CNT: 0
	.section	.text._ZN2ck35kernel_gemm_multiple_d_xdl_cshuffleINS_34GridwiseGemmMultipleD_xdl_cshuffleIDF16_DF16_DF16_ffNS_5TupleIJDF16_EEEDF16_NS_16tensor_operation12element_wise11PassThroughES6_12AlphaBetaAddLi1ELi256ELi256ELi128ELi32ELi8ELi8ELi16ELi16ELi8ELi4ENS_8SequenceIJLi4ELi64ELi1EEEENS8_IJLi1ELi0ELi2EEEESA_Li2ELi8ELi8ELb0ELi1ES9_SA_SA_Li2ELi8ELi8ELb0ELi1ELi1ELi1ENS8_IJLi1ELi32ELi1ELi8EEEELi4ELNS_13LoopSchedulerE0ELNS_15PipelineVersionE0EDF16_Lb0EEEDF16_DF16_NS2_IJPKDF16_EEEDF16_S6_S6_S7_NS_16TensorDescriptorINS2_IJNS_5EmbedINS2_IJiiEEENS2_IJiNS_17integral_constantIiLi1EEEEEELb0EEENS_8RightPadIiiLb0EEESQ_NS_7UnMergeINS2_IJiNSL_IiLi8EEEEEELb0EEENS_11PassThroughIiEEEEENS2_IJNS8_IJLi0EEEENS8_IJLi1EEEENS8_IJLi2EEEENS8_IJLi4EEEENS8_IJLi3EEEEEEENS2_IJNS8_IJLi1ELi2EEEES12_S11_NS8_IJLi5ELi6EEEENS8_IJLi7EEEEEEENS8_IJLi5ELi7ELi6EEEElEES19_NS2_IJNSI_INS2_IJSO_SQ_SQ_NSR_INS2_IJiNSL_IiLi256EEEEEELb0EEENSR_INS2_IJiNSL_IiLi128EEEEEELb0EEEEEENS2_IJSY_SZ_S10_S12_S11_EEENS2_IJS14_S12_S11_S15_NS8_IJLi7ELi8EEEEEEENS8_IJLi5ELi6ELi7ELi8EEEElEEEEES1L_NS_31BlockToCTileMap_M00_N0_M01AdaptILi256ELi128ENSI_INS2_IJSO_SQ_SQ_EEENS2_IJSY_SZ_S10_EEENS2_IJS14_S12_S11_EEENS8_IJLi3ELi4EEEElEEiEELb1EEEvPKT0_PKT1_T2_PT3_T4_T5_T6_T7_T8_T9_T10_T11_,"axG",@progbits,_ZN2ck35kernel_gemm_multiple_d_xdl_cshuffleINS_34GridwiseGemmMultipleD_xdl_cshuffleIDF16_DF16_DF16_ffNS_5TupleIJDF16_EEEDF16_NS_16tensor_operation12element_wise11PassThroughES6_12AlphaBetaAddLi1ELi256ELi256ELi128ELi32ELi8ELi8ELi16ELi16ELi8ELi4ENS_8SequenceIJLi4ELi64ELi1EEEENS8_IJLi1ELi0ELi2EEEESA_Li2ELi8ELi8ELb0ELi1ES9_SA_SA_Li2ELi8ELi8ELb0ELi1ELi1ELi1ENS8_IJLi1ELi32ELi1ELi8EEEELi4ELNS_13LoopSchedulerE0ELNS_15PipelineVersionE0EDF16_Lb0EEEDF16_DF16_NS2_IJPKDF16_EEEDF16_S6_S6_S7_NS_16TensorDescriptorINS2_IJNS_5EmbedINS2_IJiiEEENS2_IJiNS_17integral_constantIiLi1EEEEEELb0EEENS_8RightPadIiiLb0EEESQ_NS_7UnMergeINS2_IJiNSL_IiLi8EEEEEELb0EEENS_11PassThroughIiEEEEENS2_IJNS8_IJLi0EEEENS8_IJLi1EEEENS8_IJLi2EEEENS8_IJLi4EEEENS8_IJLi3EEEEEEENS2_IJNS8_IJLi1ELi2EEEES12_S11_NS8_IJLi5ELi6EEEENS8_IJLi7EEEEEEENS8_IJLi5ELi7ELi6EEEElEES19_NS2_IJNSI_INS2_IJSO_SQ_SQ_NSR_INS2_IJiNSL_IiLi256EEEEEELb0EEENSR_INS2_IJiNSL_IiLi128EEEEEELb0EEEEEENS2_IJSY_SZ_S10_S12_S11_EEENS2_IJS14_S12_S11_S15_NS8_IJLi7ELi8EEEEEEENS8_IJLi5ELi6ELi7ELi8EEEElEEEEES1L_NS_31BlockToCTileMap_M00_N0_M01AdaptILi256ELi128ENSI_INS2_IJSO_SQ_SQ_EEENS2_IJSY_SZ_S10_EEENS2_IJS14_S12_S11_EEENS8_IJLi3ELi4EEEElEEiEELb1EEEvPKT0_PKT1_T2_PT3_T4_T5_T6_T7_T8_T9_T10_T11_,comdat
	.protected	_ZN2ck35kernel_gemm_multiple_d_xdl_cshuffleINS_34GridwiseGemmMultipleD_xdl_cshuffleIDF16_DF16_DF16_ffNS_5TupleIJDF16_EEEDF16_NS_16tensor_operation12element_wise11PassThroughES6_12AlphaBetaAddLi1ELi256ELi256ELi128ELi32ELi8ELi8ELi16ELi16ELi8ELi4ENS_8SequenceIJLi4ELi64ELi1EEEENS8_IJLi1ELi0ELi2EEEESA_Li2ELi8ELi8ELb0ELi1ES9_SA_SA_Li2ELi8ELi8ELb0ELi1ELi1ELi1ENS8_IJLi1ELi32ELi1ELi8EEEELi4ELNS_13LoopSchedulerE0ELNS_15PipelineVersionE0EDF16_Lb0EEEDF16_DF16_NS2_IJPKDF16_EEEDF16_S6_S6_S7_NS_16TensorDescriptorINS2_IJNS_5EmbedINS2_IJiiEEENS2_IJiNS_17integral_constantIiLi1EEEEEELb0EEENS_8RightPadIiiLb0EEESQ_NS_7UnMergeINS2_IJiNSL_IiLi8EEEEEELb0EEENS_11PassThroughIiEEEEENS2_IJNS8_IJLi0EEEENS8_IJLi1EEEENS8_IJLi2EEEENS8_IJLi4EEEENS8_IJLi3EEEEEEENS2_IJNS8_IJLi1ELi2EEEES12_S11_NS8_IJLi5ELi6EEEENS8_IJLi7EEEEEEENS8_IJLi5ELi7ELi6EEEElEES19_NS2_IJNSI_INS2_IJSO_SQ_SQ_NSR_INS2_IJiNSL_IiLi256EEEEEELb0EEENSR_INS2_IJiNSL_IiLi128EEEEEELb0EEEEEENS2_IJSY_SZ_S10_S12_S11_EEENS2_IJS14_S12_S11_S15_NS8_IJLi7ELi8EEEEEEENS8_IJLi5ELi6ELi7ELi8EEEElEEEEES1L_NS_31BlockToCTileMap_M00_N0_M01AdaptILi256ELi128ENSI_INS2_IJSO_SQ_SQ_EEENS2_IJSY_SZ_S10_EEENS2_IJS14_S12_S11_EEENS8_IJLi3ELi4EEEElEEiEELb1EEEvPKT0_PKT1_T2_PT3_T4_T5_T6_T7_T8_T9_T10_T11_ ; -- Begin function _ZN2ck35kernel_gemm_multiple_d_xdl_cshuffleINS_34GridwiseGemmMultipleD_xdl_cshuffleIDF16_DF16_DF16_ffNS_5TupleIJDF16_EEEDF16_NS_16tensor_operation12element_wise11PassThroughES6_12AlphaBetaAddLi1ELi256ELi256ELi128ELi32ELi8ELi8ELi16ELi16ELi8ELi4ENS_8SequenceIJLi4ELi64ELi1EEEENS8_IJLi1ELi0ELi2EEEESA_Li2ELi8ELi8ELb0ELi1ES9_SA_SA_Li2ELi8ELi8ELb0ELi1ELi1ELi1ENS8_IJLi1ELi32ELi1ELi8EEEELi4ELNS_13LoopSchedulerE0ELNS_15PipelineVersionE0EDF16_Lb0EEEDF16_DF16_NS2_IJPKDF16_EEEDF16_S6_S6_S7_NS_16TensorDescriptorINS2_IJNS_5EmbedINS2_IJiiEEENS2_IJiNS_17integral_constantIiLi1EEEEEELb0EEENS_8RightPadIiiLb0EEESQ_NS_7UnMergeINS2_IJiNSL_IiLi8EEEEEELb0EEENS_11PassThroughIiEEEEENS2_IJNS8_IJLi0EEEENS8_IJLi1EEEENS8_IJLi2EEEENS8_IJLi4EEEENS8_IJLi3EEEEEEENS2_IJNS8_IJLi1ELi2EEEES12_S11_NS8_IJLi5ELi6EEEENS8_IJLi7EEEEEEENS8_IJLi5ELi7ELi6EEEElEES19_NS2_IJNSI_INS2_IJSO_SQ_SQ_NSR_INS2_IJiNSL_IiLi256EEEEEELb0EEENSR_INS2_IJiNSL_IiLi128EEEEEELb0EEEEEENS2_IJSY_SZ_S10_S12_S11_EEENS2_IJS14_S12_S11_S15_NS8_IJLi7ELi8EEEEEEENS8_IJLi5ELi6ELi7ELi8EEEElEEEEES1L_NS_31BlockToCTileMap_M00_N0_M01AdaptILi256ELi128ENSI_INS2_IJSO_SQ_SQ_EEENS2_IJSY_SZ_S10_EEENS2_IJS14_S12_S11_EEENS8_IJLi3ELi4EEEElEEiEELb1EEEvPKT0_PKT1_T2_PT3_T4_T5_T6_T7_T8_T9_T10_T11_
	.globl	_ZN2ck35kernel_gemm_multiple_d_xdl_cshuffleINS_34GridwiseGemmMultipleD_xdl_cshuffleIDF16_DF16_DF16_ffNS_5TupleIJDF16_EEEDF16_NS_16tensor_operation12element_wise11PassThroughES6_12AlphaBetaAddLi1ELi256ELi256ELi128ELi32ELi8ELi8ELi16ELi16ELi8ELi4ENS_8SequenceIJLi4ELi64ELi1EEEENS8_IJLi1ELi0ELi2EEEESA_Li2ELi8ELi8ELb0ELi1ES9_SA_SA_Li2ELi8ELi8ELb0ELi1ELi1ELi1ENS8_IJLi1ELi32ELi1ELi8EEEELi4ELNS_13LoopSchedulerE0ELNS_15PipelineVersionE0EDF16_Lb0EEEDF16_DF16_NS2_IJPKDF16_EEEDF16_S6_S6_S7_NS_16TensorDescriptorINS2_IJNS_5EmbedINS2_IJiiEEENS2_IJiNS_17integral_constantIiLi1EEEEEELb0EEENS_8RightPadIiiLb0EEESQ_NS_7UnMergeINS2_IJiNSL_IiLi8EEEEEELb0EEENS_11PassThroughIiEEEEENS2_IJNS8_IJLi0EEEENS8_IJLi1EEEENS8_IJLi2EEEENS8_IJLi4EEEENS8_IJLi3EEEEEEENS2_IJNS8_IJLi1ELi2EEEES12_S11_NS8_IJLi5ELi6EEEENS8_IJLi7EEEEEEENS8_IJLi5ELi7ELi6EEEElEES19_NS2_IJNSI_INS2_IJSO_SQ_SQ_NSR_INS2_IJiNSL_IiLi256EEEEEELb0EEENSR_INS2_IJiNSL_IiLi128EEEEEELb0EEEEEENS2_IJSY_SZ_S10_S12_S11_EEENS2_IJS14_S12_S11_S15_NS8_IJLi7ELi8EEEEEEENS8_IJLi5ELi6ELi7ELi8EEEElEEEEES1L_NS_31BlockToCTileMap_M00_N0_M01AdaptILi256ELi128ENSI_INS2_IJSO_SQ_SQ_EEENS2_IJSY_SZ_S10_EEENS2_IJS14_S12_S11_EEENS8_IJLi3ELi4EEEElEEiEELb1EEEvPKT0_PKT1_T2_PT3_T4_T5_T6_T7_T8_T9_T10_T11_
	.p2align	8
	.type	_ZN2ck35kernel_gemm_multiple_d_xdl_cshuffleINS_34GridwiseGemmMultipleD_xdl_cshuffleIDF16_DF16_DF16_ffNS_5TupleIJDF16_EEEDF16_NS_16tensor_operation12element_wise11PassThroughES6_12AlphaBetaAddLi1ELi256ELi256ELi128ELi32ELi8ELi8ELi16ELi16ELi8ELi4ENS_8SequenceIJLi4ELi64ELi1EEEENS8_IJLi1ELi0ELi2EEEESA_Li2ELi8ELi8ELb0ELi1ES9_SA_SA_Li2ELi8ELi8ELb0ELi1ELi1ELi1ENS8_IJLi1ELi32ELi1ELi8EEEELi4ELNS_13LoopSchedulerE0ELNS_15PipelineVersionE0EDF16_Lb0EEEDF16_DF16_NS2_IJPKDF16_EEEDF16_S6_S6_S7_NS_16TensorDescriptorINS2_IJNS_5EmbedINS2_IJiiEEENS2_IJiNS_17integral_constantIiLi1EEEEEELb0EEENS_8RightPadIiiLb0EEESQ_NS_7UnMergeINS2_IJiNSL_IiLi8EEEEEELb0EEENS_11PassThroughIiEEEEENS2_IJNS8_IJLi0EEEENS8_IJLi1EEEENS8_IJLi2EEEENS8_IJLi4EEEENS8_IJLi3EEEEEEENS2_IJNS8_IJLi1ELi2EEEES12_S11_NS8_IJLi5ELi6EEEENS8_IJLi7EEEEEEENS8_IJLi5ELi7ELi6EEEElEES19_NS2_IJNSI_INS2_IJSO_SQ_SQ_NSR_INS2_IJiNSL_IiLi256EEEEEELb0EEENSR_INS2_IJiNSL_IiLi128EEEEEELb0EEEEEENS2_IJSY_SZ_S10_S12_S11_EEENS2_IJS14_S12_S11_S15_NS8_IJLi7ELi8EEEEEEENS8_IJLi5ELi6ELi7ELi8EEEElEEEEES1L_NS_31BlockToCTileMap_M00_N0_M01AdaptILi256ELi128ENSI_INS2_IJSO_SQ_SQ_EEENS2_IJSY_SZ_S10_EEENS2_IJS14_S12_S11_EEENS8_IJLi3ELi4EEEElEEiEELb1EEEvPKT0_PKT1_T2_PT3_T4_T5_T6_T7_T8_T9_T10_T11_,@function
_ZN2ck35kernel_gemm_multiple_d_xdl_cshuffleINS_34GridwiseGemmMultipleD_xdl_cshuffleIDF16_DF16_DF16_ffNS_5TupleIJDF16_EEEDF16_NS_16tensor_operation12element_wise11PassThroughES6_12AlphaBetaAddLi1ELi256ELi256ELi128ELi32ELi8ELi8ELi16ELi16ELi8ELi4ENS_8SequenceIJLi4ELi64ELi1EEEENS8_IJLi1ELi0ELi2EEEESA_Li2ELi8ELi8ELb0ELi1ES9_SA_SA_Li2ELi8ELi8ELb0ELi1ELi1ELi1ENS8_IJLi1ELi32ELi1ELi8EEEELi4ELNS_13LoopSchedulerE0ELNS_15PipelineVersionE0EDF16_Lb0EEEDF16_DF16_NS2_IJPKDF16_EEEDF16_S6_S6_S7_NS_16TensorDescriptorINS2_IJNS_5EmbedINS2_IJiiEEENS2_IJiNS_17integral_constantIiLi1EEEEEELb0EEENS_8RightPadIiiLb0EEESQ_NS_7UnMergeINS2_IJiNSL_IiLi8EEEEEELb0EEENS_11PassThroughIiEEEEENS2_IJNS8_IJLi0EEEENS8_IJLi1EEEENS8_IJLi2EEEENS8_IJLi4EEEENS8_IJLi3EEEEEEENS2_IJNS8_IJLi1ELi2EEEES12_S11_NS8_IJLi5ELi6EEEENS8_IJLi7EEEEEEENS8_IJLi5ELi7ELi6EEEElEES19_NS2_IJNSI_INS2_IJSO_SQ_SQ_NSR_INS2_IJiNSL_IiLi256EEEEEELb0EEENSR_INS2_IJiNSL_IiLi128EEEEEELb0EEEEEENS2_IJSY_SZ_S10_S12_S11_EEENS2_IJS14_S12_S11_S15_NS8_IJLi7ELi8EEEEEEENS8_IJLi5ELi6ELi7ELi8EEEElEEEEES1L_NS_31BlockToCTileMap_M00_N0_M01AdaptILi256ELi128ENSI_INS2_IJSO_SQ_SQ_EEENS2_IJSY_SZ_S10_EEENS2_IJS14_S12_S11_EEENS8_IJLi3ELi4EEEElEEiEELb1EEEvPKT0_PKT1_T2_PT3_T4_T5_T6_T7_T8_T9_T10_T11_: ; @_ZN2ck35kernel_gemm_multiple_d_xdl_cshuffleINS_34GridwiseGemmMultipleD_xdl_cshuffleIDF16_DF16_DF16_ffNS_5TupleIJDF16_EEEDF16_NS_16tensor_operation12element_wise11PassThroughES6_12AlphaBetaAddLi1ELi256ELi256ELi128ELi32ELi8ELi8ELi16ELi16ELi8ELi4ENS_8SequenceIJLi4ELi64ELi1EEEENS8_IJLi1ELi0ELi2EEEESA_Li2ELi8ELi8ELb0ELi1ES9_SA_SA_Li2ELi8ELi8ELb0ELi1ELi1ELi1ENS8_IJLi1ELi32ELi1ELi8EEEELi4ELNS_13LoopSchedulerE0ELNS_15PipelineVersionE0EDF16_Lb0EEEDF16_DF16_NS2_IJPKDF16_EEEDF16_S6_S6_S7_NS_16TensorDescriptorINS2_IJNS_5EmbedINS2_IJiiEEENS2_IJiNS_17integral_constantIiLi1EEEEEELb0EEENS_8RightPadIiiLb0EEESQ_NS_7UnMergeINS2_IJiNSL_IiLi8EEEEEELb0EEENS_11PassThroughIiEEEEENS2_IJNS8_IJLi0EEEENS8_IJLi1EEEENS8_IJLi2EEEENS8_IJLi4EEEENS8_IJLi3EEEEEEENS2_IJNS8_IJLi1ELi2EEEES12_S11_NS8_IJLi5ELi6EEEENS8_IJLi7EEEEEEENS8_IJLi5ELi7ELi6EEEElEES19_NS2_IJNSI_INS2_IJSO_SQ_SQ_NSR_INS2_IJiNSL_IiLi256EEEEEELb0EEENSR_INS2_IJiNSL_IiLi128EEEEEELb0EEEEEENS2_IJSY_SZ_S10_S12_S11_EEENS2_IJS14_S12_S11_S15_NS8_IJLi7ELi8EEEEEEENS8_IJLi5ELi6ELi7ELi8EEEElEEEEES1L_NS_31BlockToCTileMap_M00_N0_M01AdaptILi256ELi128ENSI_INS2_IJSO_SQ_SQ_EEENS2_IJSY_SZ_S10_EEENS2_IJS14_S12_S11_EEENS8_IJLi3ELi4EEEElEEiEELb1EEEvPKT0_PKT1_T2_PT3_T4_T5_T6_T7_T8_T9_T10_T11_
; %bb.0:
	s_endpgm
	.section	.rodata,"a",@progbits
	.p2align	6, 0x0
	.amdhsa_kernel _ZN2ck35kernel_gemm_multiple_d_xdl_cshuffleINS_34GridwiseGemmMultipleD_xdl_cshuffleIDF16_DF16_DF16_ffNS_5TupleIJDF16_EEEDF16_NS_16tensor_operation12element_wise11PassThroughES6_12AlphaBetaAddLi1ELi256ELi256ELi128ELi32ELi8ELi8ELi16ELi16ELi8ELi4ENS_8SequenceIJLi4ELi64ELi1EEEENS8_IJLi1ELi0ELi2EEEESA_Li2ELi8ELi8ELb0ELi1ES9_SA_SA_Li2ELi8ELi8ELb0ELi1ELi1ELi1ENS8_IJLi1ELi32ELi1ELi8EEEELi4ELNS_13LoopSchedulerE0ELNS_15PipelineVersionE0EDF16_Lb0EEEDF16_DF16_NS2_IJPKDF16_EEEDF16_S6_S6_S7_NS_16TensorDescriptorINS2_IJNS_5EmbedINS2_IJiiEEENS2_IJiNS_17integral_constantIiLi1EEEEEELb0EEENS_8RightPadIiiLb0EEESQ_NS_7UnMergeINS2_IJiNSL_IiLi8EEEEEELb0EEENS_11PassThroughIiEEEEENS2_IJNS8_IJLi0EEEENS8_IJLi1EEEENS8_IJLi2EEEENS8_IJLi4EEEENS8_IJLi3EEEEEEENS2_IJNS8_IJLi1ELi2EEEES12_S11_NS8_IJLi5ELi6EEEENS8_IJLi7EEEEEEENS8_IJLi5ELi7ELi6EEEElEES19_NS2_IJNSI_INS2_IJSO_SQ_SQ_NSR_INS2_IJiNSL_IiLi256EEEEEELb0EEENSR_INS2_IJiNSL_IiLi128EEEEEELb0EEEEEENS2_IJSY_SZ_S10_S12_S11_EEENS2_IJS14_S12_S11_S15_NS8_IJLi7ELi8EEEEEEENS8_IJLi5ELi6ELi7ELi8EEEElEEEEES1L_NS_31BlockToCTileMap_M00_N0_M01AdaptILi256ELi128ENSI_INS2_IJSO_SQ_SQ_EEENS2_IJSY_SZ_S10_EEENS2_IJS14_S12_S11_EEENS8_IJLi3ELi4EEEElEEiEELb1EEEvPKT0_PKT1_T2_PT3_T4_T5_T6_T7_T8_T9_T10_T11_
		.amdhsa_group_segment_fixed_size 0
		.amdhsa_private_segment_fixed_size 0
		.amdhsa_kernarg_size 364
		.amdhsa_user_sgpr_count 15
		.amdhsa_user_sgpr_dispatch_ptr 0
		.amdhsa_user_sgpr_queue_ptr 0
		.amdhsa_user_sgpr_kernarg_segment_ptr 1
		.amdhsa_user_sgpr_dispatch_id 0
		.amdhsa_user_sgpr_private_segment_size 0
		.amdhsa_wavefront_size32 1
		.amdhsa_uses_dynamic_stack 0
		.amdhsa_enable_private_segment 0
		.amdhsa_system_sgpr_workgroup_id_x 1
		.amdhsa_system_sgpr_workgroup_id_y 0
		.amdhsa_system_sgpr_workgroup_id_z 0
		.amdhsa_system_sgpr_workgroup_info 0
		.amdhsa_system_vgpr_workitem_id 0
		.amdhsa_next_free_vgpr 1
		.amdhsa_next_free_sgpr 1
		.amdhsa_reserve_vcc 0
		.amdhsa_float_round_mode_32 0
		.amdhsa_float_round_mode_16_64 0
		.amdhsa_float_denorm_mode_32 3
		.amdhsa_float_denorm_mode_16_64 3
		.amdhsa_dx10_clamp 1
		.amdhsa_ieee_mode 1
		.amdhsa_fp16_overflow 0
		.amdhsa_workgroup_processor_mode 1
		.amdhsa_memory_ordered 1
		.amdhsa_forward_progress 0
		.amdhsa_shared_vgpr_count 0
		.amdhsa_exception_fp_ieee_invalid_op 0
		.amdhsa_exception_fp_denorm_src 0
		.amdhsa_exception_fp_ieee_div_zero 0
		.amdhsa_exception_fp_ieee_overflow 0
		.amdhsa_exception_fp_ieee_underflow 0
		.amdhsa_exception_fp_ieee_inexact 0
		.amdhsa_exception_int_div_zero 0
	.end_amdhsa_kernel
	.section	.text._ZN2ck35kernel_gemm_multiple_d_xdl_cshuffleINS_34GridwiseGemmMultipleD_xdl_cshuffleIDF16_DF16_DF16_ffNS_5TupleIJDF16_EEEDF16_NS_16tensor_operation12element_wise11PassThroughES6_12AlphaBetaAddLi1ELi256ELi256ELi128ELi32ELi8ELi8ELi16ELi16ELi8ELi4ENS_8SequenceIJLi4ELi64ELi1EEEENS8_IJLi1ELi0ELi2EEEESA_Li2ELi8ELi8ELb0ELi1ES9_SA_SA_Li2ELi8ELi8ELb0ELi1ELi1ELi1ENS8_IJLi1ELi32ELi1ELi8EEEELi4ELNS_13LoopSchedulerE0ELNS_15PipelineVersionE0EDF16_Lb0EEEDF16_DF16_NS2_IJPKDF16_EEEDF16_S6_S6_S7_NS_16TensorDescriptorINS2_IJNS_5EmbedINS2_IJiiEEENS2_IJiNS_17integral_constantIiLi1EEEEEELb0EEENS_8RightPadIiiLb0EEESQ_NS_7UnMergeINS2_IJiNSL_IiLi8EEEEEELb0EEENS_11PassThroughIiEEEEENS2_IJNS8_IJLi0EEEENS8_IJLi1EEEENS8_IJLi2EEEENS8_IJLi4EEEENS8_IJLi3EEEEEEENS2_IJNS8_IJLi1ELi2EEEES12_S11_NS8_IJLi5ELi6EEEENS8_IJLi7EEEEEEENS8_IJLi5ELi7ELi6EEEElEES19_NS2_IJNSI_INS2_IJSO_SQ_SQ_NSR_INS2_IJiNSL_IiLi256EEEEEELb0EEENSR_INS2_IJiNSL_IiLi128EEEEEELb0EEEEEENS2_IJSY_SZ_S10_S12_S11_EEENS2_IJS14_S12_S11_S15_NS8_IJLi7ELi8EEEEEEENS8_IJLi5ELi6ELi7ELi8EEEElEEEEES1L_NS_31BlockToCTileMap_M00_N0_M01AdaptILi256ELi128ENSI_INS2_IJSO_SQ_SQ_EEENS2_IJSY_SZ_S10_EEENS2_IJS14_S12_S11_EEENS8_IJLi3ELi4EEEElEEiEELb1EEEvPKT0_PKT1_T2_PT3_T4_T5_T6_T7_T8_T9_T10_T11_,"axG",@progbits,_ZN2ck35kernel_gemm_multiple_d_xdl_cshuffleINS_34GridwiseGemmMultipleD_xdl_cshuffleIDF16_DF16_DF16_ffNS_5TupleIJDF16_EEEDF16_NS_16tensor_operation12element_wise11PassThroughES6_12AlphaBetaAddLi1ELi256ELi256ELi128ELi32ELi8ELi8ELi16ELi16ELi8ELi4ENS_8SequenceIJLi4ELi64ELi1EEEENS8_IJLi1ELi0ELi2EEEESA_Li2ELi8ELi8ELb0ELi1ES9_SA_SA_Li2ELi8ELi8ELb0ELi1ELi1ELi1ENS8_IJLi1ELi32ELi1ELi8EEEELi4ELNS_13LoopSchedulerE0ELNS_15PipelineVersionE0EDF16_Lb0EEEDF16_DF16_NS2_IJPKDF16_EEEDF16_S6_S6_S7_NS_16TensorDescriptorINS2_IJNS_5EmbedINS2_IJiiEEENS2_IJiNS_17integral_constantIiLi1EEEEEELb0EEENS_8RightPadIiiLb0EEESQ_NS_7UnMergeINS2_IJiNSL_IiLi8EEEEEELb0EEENS_11PassThroughIiEEEEENS2_IJNS8_IJLi0EEEENS8_IJLi1EEEENS8_IJLi2EEEENS8_IJLi4EEEENS8_IJLi3EEEEEEENS2_IJNS8_IJLi1ELi2EEEES12_S11_NS8_IJLi5ELi6EEEENS8_IJLi7EEEEEEENS8_IJLi5ELi7ELi6EEEElEES19_NS2_IJNSI_INS2_IJSO_SQ_SQ_NSR_INS2_IJiNSL_IiLi256EEEEEELb0EEENSR_INS2_IJiNSL_IiLi128EEEEEELb0EEEEEENS2_IJSY_SZ_S10_S12_S11_EEENS2_IJS14_S12_S11_S15_NS8_IJLi7ELi8EEEEEEENS8_IJLi5ELi6ELi7ELi8EEEElEEEEES1L_NS_31BlockToCTileMap_M00_N0_M01AdaptILi256ELi128ENSI_INS2_IJSO_SQ_SQ_EEENS2_IJSY_SZ_S10_EEENS2_IJS14_S12_S11_EEENS8_IJLi3ELi4EEEElEEiEELb1EEEvPKT0_PKT1_T2_PT3_T4_T5_T6_T7_T8_T9_T10_T11_,comdat
.Lfunc_end1:
	.size	_ZN2ck35kernel_gemm_multiple_d_xdl_cshuffleINS_34GridwiseGemmMultipleD_xdl_cshuffleIDF16_DF16_DF16_ffNS_5TupleIJDF16_EEEDF16_NS_16tensor_operation12element_wise11PassThroughES6_12AlphaBetaAddLi1ELi256ELi256ELi128ELi32ELi8ELi8ELi16ELi16ELi8ELi4ENS_8SequenceIJLi4ELi64ELi1EEEENS8_IJLi1ELi0ELi2EEEESA_Li2ELi8ELi8ELb0ELi1ES9_SA_SA_Li2ELi8ELi8ELb0ELi1ELi1ELi1ENS8_IJLi1ELi32ELi1ELi8EEEELi4ELNS_13LoopSchedulerE0ELNS_15PipelineVersionE0EDF16_Lb0EEEDF16_DF16_NS2_IJPKDF16_EEEDF16_S6_S6_S7_NS_16TensorDescriptorINS2_IJNS_5EmbedINS2_IJiiEEENS2_IJiNS_17integral_constantIiLi1EEEEEELb0EEENS_8RightPadIiiLb0EEESQ_NS_7UnMergeINS2_IJiNSL_IiLi8EEEEEELb0EEENS_11PassThroughIiEEEEENS2_IJNS8_IJLi0EEEENS8_IJLi1EEEENS8_IJLi2EEEENS8_IJLi4EEEENS8_IJLi3EEEEEEENS2_IJNS8_IJLi1ELi2EEEES12_S11_NS8_IJLi5ELi6EEEENS8_IJLi7EEEEEEENS8_IJLi5ELi7ELi6EEEElEES19_NS2_IJNSI_INS2_IJSO_SQ_SQ_NSR_INS2_IJiNSL_IiLi256EEEEEELb0EEENSR_INS2_IJiNSL_IiLi128EEEEEELb0EEEEEENS2_IJSY_SZ_S10_S12_S11_EEENS2_IJS14_S12_S11_S15_NS8_IJLi7ELi8EEEEEEENS8_IJLi5ELi6ELi7ELi8EEEElEEEEES1L_NS_31BlockToCTileMap_M00_N0_M01AdaptILi256ELi128ENSI_INS2_IJSO_SQ_SQ_EEENS2_IJSY_SZ_S10_EEENS2_IJS14_S12_S11_EEENS8_IJLi3ELi4EEEElEEiEELb1EEEvPKT0_PKT1_T2_PT3_T4_T5_T6_T7_T8_T9_T10_T11_, .Lfunc_end1-_ZN2ck35kernel_gemm_multiple_d_xdl_cshuffleINS_34GridwiseGemmMultipleD_xdl_cshuffleIDF16_DF16_DF16_ffNS_5TupleIJDF16_EEEDF16_NS_16tensor_operation12element_wise11PassThroughES6_12AlphaBetaAddLi1ELi256ELi256ELi128ELi32ELi8ELi8ELi16ELi16ELi8ELi4ENS_8SequenceIJLi4ELi64ELi1EEEENS8_IJLi1ELi0ELi2EEEESA_Li2ELi8ELi8ELb0ELi1ES9_SA_SA_Li2ELi8ELi8ELb0ELi1ELi1ELi1ENS8_IJLi1ELi32ELi1ELi8EEEELi4ELNS_13LoopSchedulerE0ELNS_15PipelineVersionE0EDF16_Lb0EEEDF16_DF16_NS2_IJPKDF16_EEEDF16_S6_S6_S7_NS_16TensorDescriptorINS2_IJNS_5EmbedINS2_IJiiEEENS2_IJiNS_17integral_constantIiLi1EEEEEELb0EEENS_8RightPadIiiLb0EEESQ_NS_7UnMergeINS2_IJiNSL_IiLi8EEEEEELb0EEENS_11PassThroughIiEEEEENS2_IJNS8_IJLi0EEEENS8_IJLi1EEEENS8_IJLi2EEEENS8_IJLi4EEEENS8_IJLi3EEEEEEENS2_IJNS8_IJLi1ELi2EEEES12_S11_NS8_IJLi5ELi6EEEENS8_IJLi7EEEEEEENS8_IJLi5ELi7ELi6EEEElEES19_NS2_IJNSI_INS2_IJSO_SQ_SQ_NSR_INS2_IJiNSL_IiLi256EEEEEELb0EEENSR_INS2_IJiNSL_IiLi128EEEEEELb0EEEEEENS2_IJSY_SZ_S10_S12_S11_EEENS2_IJS14_S12_S11_S15_NS8_IJLi7ELi8EEEEEEENS8_IJLi5ELi6ELi7ELi8EEEElEEEEES1L_NS_31BlockToCTileMap_M00_N0_M01AdaptILi256ELi128ENSI_INS2_IJSO_SQ_SQ_EEENS2_IJSY_SZ_S10_EEENS2_IJS14_S12_S11_EEENS8_IJLi3ELi4EEEElEEiEELb1EEEvPKT0_PKT1_T2_PT3_T4_T5_T6_T7_T8_T9_T10_T11_
                                        ; -- End function
	.section	.AMDGPU.csdata,"",@progbits
; Kernel info:
; codeLenInByte = 4
; NumSgprs: 0
; NumVgprs: 0
; ScratchSize: 0
; MemoryBound: 0
; FloatMode: 240
; IeeeMode: 1
; LDSByteSize: 0 bytes/workgroup (compile time only)
; SGPRBlocks: 0
; VGPRBlocks: 0
; NumSGPRsForWavesPerEU: 1
; NumVGPRsForWavesPerEU: 1
; Occupancy: 16
; WaveLimiterHint : 0
; COMPUTE_PGM_RSRC2:SCRATCH_EN: 0
; COMPUTE_PGM_RSRC2:USER_SGPR: 15
; COMPUTE_PGM_RSRC2:TRAP_HANDLER: 0
; COMPUTE_PGM_RSRC2:TGID_X_EN: 1
; COMPUTE_PGM_RSRC2:TGID_Y_EN: 0
; COMPUTE_PGM_RSRC2:TGID_Z_EN: 0
; COMPUTE_PGM_RSRC2:TIDIG_COMP_CNT: 0
	.section	.text._ZN2ck35kernel_gemm_multiple_d_xdl_cshuffleINS_34GridwiseGemmMultipleD_xdl_cshuffleIDF16_DF16_DF16_ffNS_5TupleIJDF16_EEEDF16_NS_16tensor_operation12element_wise11PassThroughES6_12AlphaBetaAddLi1ELi256ELi256ELi128ELi32ELi8ELi8ELi16ELi16ELi8ELi4ENS_8SequenceIJLi4ELi64ELi1EEEENS8_IJLi1ELi0ELi2EEEESA_Li2ELi8ELi8ELb0ELi1ES9_SA_SA_Li2ELi8ELi8ELb0ELi1ELi1ELi1ENS8_IJLi1ELi32ELi1ELi8EEEELi4ELNS_13LoopSchedulerE0ELNS_15PipelineVersionE0EDF16_Lb0EEEDF16_DF16_NS2_IJPKDF16_EEEDF16_S6_S6_S7_NS_16TensorDescriptorINS2_IJNS_5EmbedINS2_IJiiEEENS2_IJiNS_17integral_constantIiLi1EEEEEELb0EEENS_8RightPadIiiLb0EEESQ_NS_7UnMergeINS2_IJiNSL_IiLi8EEEEEELb0EEENS_11PassThroughIiEEEEENS2_IJNS8_IJLi0EEEENS8_IJLi1EEEENS8_IJLi2EEEENS8_IJLi4EEEENS8_IJLi3EEEEEEENS2_IJNS8_IJLi1ELi2EEEES12_S11_NS8_IJLi5ELi6EEEENS8_IJLi7EEEEEEENS8_IJLi5ELi7ELi6EEEElEES19_NS2_IJNSI_INS2_IJSO_SQ_SQ_NSR_INS2_IJiNSL_IiLi256EEEEEELb0EEENSR_INS2_IJiNSL_IiLi128EEEEEELb0EEEEEENS2_IJSY_SZ_S10_S12_S11_EEENS2_IJS14_S12_S11_S15_NS8_IJLi7ELi8EEEEEEENS8_IJLi5ELi6ELi7ELi8EEEElEEEEES1L_NS_31BlockToCTileMap_M00_N0_M01AdaptILi256ELi128ENSI_INS2_IJSO_SQ_SQ_EEENS2_IJSY_SZ_S10_EEENS2_IJS14_S12_S11_EEENS8_IJLi3ELi4EEEElEEiEELb0EEEvPKT0_PKT1_T2_PT3_T4_T5_T6_T7_T8_T9_T10_T11_,"axG",@progbits,_ZN2ck35kernel_gemm_multiple_d_xdl_cshuffleINS_34GridwiseGemmMultipleD_xdl_cshuffleIDF16_DF16_DF16_ffNS_5TupleIJDF16_EEEDF16_NS_16tensor_operation12element_wise11PassThroughES6_12AlphaBetaAddLi1ELi256ELi256ELi128ELi32ELi8ELi8ELi16ELi16ELi8ELi4ENS_8SequenceIJLi4ELi64ELi1EEEENS8_IJLi1ELi0ELi2EEEESA_Li2ELi8ELi8ELb0ELi1ES9_SA_SA_Li2ELi8ELi8ELb0ELi1ELi1ELi1ENS8_IJLi1ELi32ELi1ELi8EEEELi4ELNS_13LoopSchedulerE0ELNS_15PipelineVersionE0EDF16_Lb0EEEDF16_DF16_NS2_IJPKDF16_EEEDF16_S6_S6_S7_NS_16TensorDescriptorINS2_IJNS_5EmbedINS2_IJiiEEENS2_IJiNS_17integral_constantIiLi1EEEEEELb0EEENS_8RightPadIiiLb0EEESQ_NS_7UnMergeINS2_IJiNSL_IiLi8EEEEEELb0EEENS_11PassThroughIiEEEEENS2_IJNS8_IJLi0EEEENS8_IJLi1EEEENS8_IJLi2EEEENS8_IJLi4EEEENS8_IJLi3EEEEEEENS2_IJNS8_IJLi1ELi2EEEES12_S11_NS8_IJLi5ELi6EEEENS8_IJLi7EEEEEEENS8_IJLi5ELi7ELi6EEEElEES19_NS2_IJNSI_INS2_IJSO_SQ_SQ_NSR_INS2_IJiNSL_IiLi256EEEEEELb0EEENSR_INS2_IJiNSL_IiLi128EEEEEELb0EEEEEENS2_IJSY_SZ_S10_S12_S11_EEENS2_IJS14_S12_S11_S15_NS8_IJLi7ELi8EEEEEEENS8_IJLi5ELi6ELi7ELi8EEEElEEEEES1L_NS_31BlockToCTileMap_M00_N0_M01AdaptILi256ELi128ENSI_INS2_IJSO_SQ_SQ_EEENS2_IJSY_SZ_S10_EEENS2_IJS14_S12_S11_EEENS8_IJLi3ELi4EEEElEEiEELb0EEEvPKT0_PKT1_T2_PT3_T4_T5_T6_T7_T8_T9_T10_T11_,comdat
	.protected	_ZN2ck35kernel_gemm_multiple_d_xdl_cshuffleINS_34GridwiseGemmMultipleD_xdl_cshuffleIDF16_DF16_DF16_ffNS_5TupleIJDF16_EEEDF16_NS_16tensor_operation12element_wise11PassThroughES6_12AlphaBetaAddLi1ELi256ELi256ELi128ELi32ELi8ELi8ELi16ELi16ELi8ELi4ENS_8SequenceIJLi4ELi64ELi1EEEENS8_IJLi1ELi0ELi2EEEESA_Li2ELi8ELi8ELb0ELi1ES9_SA_SA_Li2ELi8ELi8ELb0ELi1ELi1ELi1ENS8_IJLi1ELi32ELi1ELi8EEEELi4ELNS_13LoopSchedulerE0ELNS_15PipelineVersionE0EDF16_Lb0EEEDF16_DF16_NS2_IJPKDF16_EEEDF16_S6_S6_S7_NS_16TensorDescriptorINS2_IJNS_5EmbedINS2_IJiiEEENS2_IJiNS_17integral_constantIiLi1EEEEEELb0EEENS_8RightPadIiiLb0EEESQ_NS_7UnMergeINS2_IJiNSL_IiLi8EEEEEELb0EEENS_11PassThroughIiEEEEENS2_IJNS8_IJLi0EEEENS8_IJLi1EEEENS8_IJLi2EEEENS8_IJLi4EEEENS8_IJLi3EEEEEEENS2_IJNS8_IJLi1ELi2EEEES12_S11_NS8_IJLi5ELi6EEEENS8_IJLi7EEEEEEENS8_IJLi5ELi7ELi6EEEElEES19_NS2_IJNSI_INS2_IJSO_SQ_SQ_NSR_INS2_IJiNSL_IiLi256EEEEEELb0EEENSR_INS2_IJiNSL_IiLi128EEEEEELb0EEEEEENS2_IJSY_SZ_S10_S12_S11_EEENS2_IJS14_S12_S11_S15_NS8_IJLi7ELi8EEEEEEENS8_IJLi5ELi6ELi7ELi8EEEElEEEEES1L_NS_31BlockToCTileMap_M00_N0_M01AdaptILi256ELi128ENSI_INS2_IJSO_SQ_SQ_EEENS2_IJSY_SZ_S10_EEENS2_IJS14_S12_S11_EEENS8_IJLi3ELi4EEEElEEiEELb0EEEvPKT0_PKT1_T2_PT3_T4_T5_T6_T7_T8_T9_T10_T11_ ; -- Begin function _ZN2ck35kernel_gemm_multiple_d_xdl_cshuffleINS_34GridwiseGemmMultipleD_xdl_cshuffleIDF16_DF16_DF16_ffNS_5TupleIJDF16_EEEDF16_NS_16tensor_operation12element_wise11PassThroughES6_12AlphaBetaAddLi1ELi256ELi256ELi128ELi32ELi8ELi8ELi16ELi16ELi8ELi4ENS_8SequenceIJLi4ELi64ELi1EEEENS8_IJLi1ELi0ELi2EEEESA_Li2ELi8ELi8ELb0ELi1ES9_SA_SA_Li2ELi8ELi8ELb0ELi1ELi1ELi1ENS8_IJLi1ELi32ELi1ELi8EEEELi4ELNS_13LoopSchedulerE0ELNS_15PipelineVersionE0EDF16_Lb0EEEDF16_DF16_NS2_IJPKDF16_EEEDF16_S6_S6_S7_NS_16TensorDescriptorINS2_IJNS_5EmbedINS2_IJiiEEENS2_IJiNS_17integral_constantIiLi1EEEEEELb0EEENS_8RightPadIiiLb0EEESQ_NS_7UnMergeINS2_IJiNSL_IiLi8EEEEEELb0EEENS_11PassThroughIiEEEEENS2_IJNS8_IJLi0EEEENS8_IJLi1EEEENS8_IJLi2EEEENS8_IJLi4EEEENS8_IJLi3EEEEEEENS2_IJNS8_IJLi1ELi2EEEES12_S11_NS8_IJLi5ELi6EEEENS8_IJLi7EEEEEEENS8_IJLi5ELi7ELi6EEEElEES19_NS2_IJNSI_INS2_IJSO_SQ_SQ_NSR_INS2_IJiNSL_IiLi256EEEEEELb0EEENSR_INS2_IJiNSL_IiLi128EEEEEELb0EEEEEENS2_IJSY_SZ_S10_S12_S11_EEENS2_IJS14_S12_S11_S15_NS8_IJLi7ELi8EEEEEEENS8_IJLi5ELi6ELi7ELi8EEEElEEEEES1L_NS_31BlockToCTileMap_M00_N0_M01AdaptILi256ELi128ENSI_INS2_IJSO_SQ_SQ_EEENS2_IJSY_SZ_S10_EEENS2_IJS14_S12_S11_EEENS8_IJLi3ELi4EEEElEEiEELb0EEEvPKT0_PKT1_T2_PT3_T4_T5_T6_T7_T8_T9_T10_T11_
	.globl	_ZN2ck35kernel_gemm_multiple_d_xdl_cshuffleINS_34GridwiseGemmMultipleD_xdl_cshuffleIDF16_DF16_DF16_ffNS_5TupleIJDF16_EEEDF16_NS_16tensor_operation12element_wise11PassThroughES6_12AlphaBetaAddLi1ELi256ELi256ELi128ELi32ELi8ELi8ELi16ELi16ELi8ELi4ENS_8SequenceIJLi4ELi64ELi1EEEENS8_IJLi1ELi0ELi2EEEESA_Li2ELi8ELi8ELb0ELi1ES9_SA_SA_Li2ELi8ELi8ELb0ELi1ELi1ELi1ENS8_IJLi1ELi32ELi1ELi8EEEELi4ELNS_13LoopSchedulerE0ELNS_15PipelineVersionE0EDF16_Lb0EEEDF16_DF16_NS2_IJPKDF16_EEEDF16_S6_S6_S7_NS_16TensorDescriptorINS2_IJNS_5EmbedINS2_IJiiEEENS2_IJiNS_17integral_constantIiLi1EEEEEELb0EEENS_8RightPadIiiLb0EEESQ_NS_7UnMergeINS2_IJiNSL_IiLi8EEEEEELb0EEENS_11PassThroughIiEEEEENS2_IJNS8_IJLi0EEEENS8_IJLi1EEEENS8_IJLi2EEEENS8_IJLi4EEEENS8_IJLi3EEEEEEENS2_IJNS8_IJLi1ELi2EEEES12_S11_NS8_IJLi5ELi6EEEENS8_IJLi7EEEEEEENS8_IJLi5ELi7ELi6EEEElEES19_NS2_IJNSI_INS2_IJSO_SQ_SQ_NSR_INS2_IJiNSL_IiLi256EEEEEELb0EEENSR_INS2_IJiNSL_IiLi128EEEEEELb0EEEEEENS2_IJSY_SZ_S10_S12_S11_EEENS2_IJS14_S12_S11_S15_NS8_IJLi7ELi8EEEEEEENS8_IJLi5ELi6ELi7ELi8EEEElEEEEES1L_NS_31BlockToCTileMap_M00_N0_M01AdaptILi256ELi128ENSI_INS2_IJSO_SQ_SQ_EEENS2_IJSY_SZ_S10_EEENS2_IJS14_S12_S11_EEENS8_IJLi3ELi4EEEElEEiEELb0EEEvPKT0_PKT1_T2_PT3_T4_T5_T6_T7_T8_T9_T10_T11_
	.p2align	8
	.type	_ZN2ck35kernel_gemm_multiple_d_xdl_cshuffleINS_34GridwiseGemmMultipleD_xdl_cshuffleIDF16_DF16_DF16_ffNS_5TupleIJDF16_EEEDF16_NS_16tensor_operation12element_wise11PassThroughES6_12AlphaBetaAddLi1ELi256ELi256ELi128ELi32ELi8ELi8ELi16ELi16ELi8ELi4ENS_8SequenceIJLi4ELi64ELi1EEEENS8_IJLi1ELi0ELi2EEEESA_Li2ELi8ELi8ELb0ELi1ES9_SA_SA_Li2ELi8ELi8ELb0ELi1ELi1ELi1ENS8_IJLi1ELi32ELi1ELi8EEEELi4ELNS_13LoopSchedulerE0ELNS_15PipelineVersionE0EDF16_Lb0EEEDF16_DF16_NS2_IJPKDF16_EEEDF16_S6_S6_S7_NS_16TensorDescriptorINS2_IJNS_5EmbedINS2_IJiiEEENS2_IJiNS_17integral_constantIiLi1EEEEEELb0EEENS_8RightPadIiiLb0EEESQ_NS_7UnMergeINS2_IJiNSL_IiLi8EEEEEELb0EEENS_11PassThroughIiEEEEENS2_IJNS8_IJLi0EEEENS8_IJLi1EEEENS8_IJLi2EEEENS8_IJLi4EEEENS8_IJLi3EEEEEEENS2_IJNS8_IJLi1ELi2EEEES12_S11_NS8_IJLi5ELi6EEEENS8_IJLi7EEEEEEENS8_IJLi5ELi7ELi6EEEElEES19_NS2_IJNSI_INS2_IJSO_SQ_SQ_NSR_INS2_IJiNSL_IiLi256EEEEEELb0EEENSR_INS2_IJiNSL_IiLi128EEEEEELb0EEEEEENS2_IJSY_SZ_S10_S12_S11_EEENS2_IJS14_S12_S11_S15_NS8_IJLi7ELi8EEEEEEENS8_IJLi5ELi6ELi7ELi8EEEElEEEEES1L_NS_31BlockToCTileMap_M00_N0_M01AdaptILi256ELi128ENSI_INS2_IJSO_SQ_SQ_EEENS2_IJSY_SZ_S10_EEENS2_IJS14_S12_S11_EEENS8_IJLi3ELi4EEEElEEiEELb0EEEvPKT0_PKT1_T2_PT3_T4_T5_T6_T7_T8_T9_T10_T11_,@function
_ZN2ck35kernel_gemm_multiple_d_xdl_cshuffleINS_34GridwiseGemmMultipleD_xdl_cshuffleIDF16_DF16_DF16_ffNS_5TupleIJDF16_EEEDF16_NS_16tensor_operation12element_wise11PassThroughES6_12AlphaBetaAddLi1ELi256ELi256ELi128ELi32ELi8ELi8ELi16ELi16ELi8ELi4ENS_8SequenceIJLi4ELi64ELi1EEEENS8_IJLi1ELi0ELi2EEEESA_Li2ELi8ELi8ELb0ELi1ES9_SA_SA_Li2ELi8ELi8ELb0ELi1ELi1ELi1ENS8_IJLi1ELi32ELi1ELi8EEEELi4ELNS_13LoopSchedulerE0ELNS_15PipelineVersionE0EDF16_Lb0EEEDF16_DF16_NS2_IJPKDF16_EEEDF16_S6_S6_S7_NS_16TensorDescriptorINS2_IJNS_5EmbedINS2_IJiiEEENS2_IJiNS_17integral_constantIiLi1EEEEEELb0EEENS_8RightPadIiiLb0EEESQ_NS_7UnMergeINS2_IJiNSL_IiLi8EEEEEELb0EEENS_11PassThroughIiEEEEENS2_IJNS8_IJLi0EEEENS8_IJLi1EEEENS8_IJLi2EEEENS8_IJLi4EEEENS8_IJLi3EEEEEEENS2_IJNS8_IJLi1ELi2EEEES12_S11_NS8_IJLi5ELi6EEEENS8_IJLi7EEEEEEENS8_IJLi5ELi7ELi6EEEElEES19_NS2_IJNSI_INS2_IJSO_SQ_SQ_NSR_INS2_IJiNSL_IiLi256EEEEEELb0EEENSR_INS2_IJiNSL_IiLi128EEEEEELb0EEEEEENS2_IJSY_SZ_S10_S12_S11_EEENS2_IJS14_S12_S11_S15_NS8_IJLi7ELi8EEEEEEENS8_IJLi5ELi6ELi7ELi8EEEElEEEEES1L_NS_31BlockToCTileMap_M00_N0_M01AdaptILi256ELi128ENSI_INS2_IJSO_SQ_SQ_EEENS2_IJSY_SZ_S10_EEENS2_IJS14_S12_S11_EEENS8_IJLi3ELi4EEEElEEiEELb0EEEvPKT0_PKT1_T2_PT3_T4_T5_T6_T7_T8_T9_T10_T11_: ; @_ZN2ck35kernel_gemm_multiple_d_xdl_cshuffleINS_34GridwiseGemmMultipleD_xdl_cshuffleIDF16_DF16_DF16_ffNS_5TupleIJDF16_EEEDF16_NS_16tensor_operation12element_wise11PassThroughES6_12AlphaBetaAddLi1ELi256ELi256ELi128ELi32ELi8ELi8ELi16ELi16ELi8ELi4ENS_8SequenceIJLi4ELi64ELi1EEEENS8_IJLi1ELi0ELi2EEEESA_Li2ELi8ELi8ELb0ELi1ES9_SA_SA_Li2ELi8ELi8ELb0ELi1ELi1ELi1ENS8_IJLi1ELi32ELi1ELi8EEEELi4ELNS_13LoopSchedulerE0ELNS_15PipelineVersionE0EDF16_Lb0EEEDF16_DF16_NS2_IJPKDF16_EEEDF16_S6_S6_S7_NS_16TensorDescriptorINS2_IJNS_5EmbedINS2_IJiiEEENS2_IJiNS_17integral_constantIiLi1EEEEEELb0EEENS_8RightPadIiiLb0EEESQ_NS_7UnMergeINS2_IJiNSL_IiLi8EEEEEELb0EEENS_11PassThroughIiEEEEENS2_IJNS8_IJLi0EEEENS8_IJLi1EEEENS8_IJLi2EEEENS8_IJLi4EEEENS8_IJLi3EEEEEEENS2_IJNS8_IJLi1ELi2EEEES12_S11_NS8_IJLi5ELi6EEEENS8_IJLi7EEEEEEENS8_IJLi5ELi7ELi6EEEElEES19_NS2_IJNSI_INS2_IJSO_SQ_SQ_NSR_INS2_IJiNSL_IiLi256EEEEEELb0EEENSR_INS2_IJiNSL_IiLi128EEEEEELb0EEEEEENS2_IJSY_SZ_S10_S12_S11_EEENS2_IJS14_S12_S11_S15_NS8_IJLi7ELi8EEEEEEENS8_IJLi5ELi6ELi7ELi8EEEElEEEEES1L_NS_31BlockToCTileMap_M00_N0_M01AdaptILi256ELi128ENSI_INS2_IJSO_SQ_SQ_EEENS2_IJSY_SZ_S10_EEENS2_IJS14_S12_S11_EEENS8_IJLi3ELi4EEEElEEiEELb0EEEvPKT0_PKT1_T2_PT3_T4_T5_T6_T7_T8_T9_T10_T11_
; %bb.0:
	s_endpgm
	.section	.rodata,"a",@progbits
	.p2align	6, 0x0
	.amdhsa_kernel _ZN2ck35kernel_gemm_multiple_d_xdl_cshuffleINS_34GridwiseGemmMultipleD_xdl_cshuffleIDF16_DF16_DF16_ffNS_5TupleIJDF16_EEEDF16_NS_16tensor_operation12element_wise11PassThroughES6_12AlphaBetaAddLi1ELi256ELi256ELi128ELi32ELi8ELi8ELi16ELi16ELi8ELi4ENS_8SequenceIJLi4ELi64ELi1EEEENS8_IJLi1ELi0ELi2EEEESA_Li2ELi8ELi8ELb0ELi1ES9_SA_SA_Li2ELi8ELi8ELb0ELi1ELi1ELi1ENS8_IJLi1ELi32ELi1ELi8EEEELi4ELNS_13LoopSchedulerE0ELNS_15PipelineVersionE0EDF16_Lb0EEEDF16_DF16_NS2_IJPKDF16_EEEDF16_S6_S6_S7_NS_16TensorDescriptorINS2_IJNS_5EmbedINS2_IJiiEEENS2_IJiNS_17integral_constantIiLi1EEEEEELb0EEENS_8RightPadIiiLb0EEESQ_NS_7UnMergeINS2_IJiNSL_IiLi8EEEEEELb0EEENS_11PassThroughIiEEEEENS2_IJNS8_IJLi0EEEENS8_IJLi1EEEENS8_IJLi2EEEENS8_IJLi4EEEENS8_IJLi3EEEEEEENS2_IJNS8_IJLi1ELi2EEEES12_S11_NS8_IJLi5ELi6EEEENS8_IJLi7EEEEEEENS8_IJLi5ELi7ELi6EEEElEES19_NS2_IJNSI_INS2_IJSO_SQ_SQ_NSR_INS2_IJiNSL_IiLi256EEEEEELb0EEENSR_INS2_IJiNSL_IiLi128EEEEEELb0EEEEEENS2_IJSY_SZ_S10_S12_S11_EEENS2_IJS14_S12_S11_S15_NS8_IJLi7ELi8EEEEEEENS8_IJLi5ELi6ELi7ELi8EEEElEEEEES1L_NS_31BlockToCTileMap_M00_N0_M01AdaptILi256ELi128ENSI_INS2_IJSO_SQ_SQ_EEENS2_IJSY_SZ_S10_EEENS2_IJS14_S12_S11_EEENS8_IJLi3ELi4EEEElEEiEELb0EEEvPKT0_PKT1_T2_PT3_T4_T5_T6_T7_T8_T9_T10_T11_
		.amdhsa_group_segment_fixed_size 0
		.amdhsa_private_segment_fixed_size 0
		.amdhsa_kernarg_size 364
		.amdhsa_user_sgpr_count 15
		.amdhsa_user_sgpr_dispatch_ptr 0
		.amdhsa_user_sgpr_queue_ptr 0
		.amdhsa_user_sgpr_kernarg_segment_ptr 1
		.amdhsa_user_sgpr_dispatch_id 0
		.amdhsa_user_sgpr_private_segment_size 0
		.amdhsa_wavefront_size32 1
		.amdhsa_uses_dynamic_stack 0
		.amdhsa_enable_private_segment 0
		.amdhsa_system_sgpr_workgroup_id_x 1
		.amdhsa_system_sgpr_workgroup_id_y 0
		.amdhsa_system_sgpr_workgroup_id_z 0
		.amdhsa_system_sgpr_workgroup_info 0
		.amdhsa_system_vgpr_workitem_id 0
		.amdhsa_next_free_vgpr 1
		.amdhsa_next_free_sgpr 1
		.amdhsa_reserve_vcc 0
		.amdhsa_float_round_mode_32 0
		.amdhsa_float_round_mode_16_64 0
		.amdhsa_float_denorm_mode_32 3
		.amdhsa_float_denorm_mode_16_64 3
		.amdhsa_dx10_clamp 1
		.amdhsa_ieee_mode 1
		.amdhsa_fp16_overflow 0
		.amdhsa_workgroup_processor_mode 1
		.amdhsa_memory_ordered 1
		.amdhsa_forward_progress 0
		.amdhsa_shared_vgpr_count 0
		.amdhsa_exception_fp_ieee_invalid_op 0
		.amdhsa_exception_fp_denorm_src 0
		.amdhsa_exception_fp_ieee_div_zero 0
		.amdhsa_exception_fp_ieee_overflow 0
		.amdhsa_exception_fp_ieee_underflow 0
		.amdhsa_exception_fp_ieee_inexact 0
		.amdhsa_exception_int_div_zero 0
	.end_amdhsa_kernel
	.section	.text._ZN2ck35kernel_gemm_multiple_d_xdl_cshuffleINS_34GridwiseGemmMultipleD_xdl_cshuffleIDF16_DF16_DF16_ffNS_5TupleIJDF16_EEEDF16_NS_16tensor_operation12element_wise11PassThroughES6_12AlphaBetaAddLi1ELi256ELi256ELi128ELi32ELi8ELi8ELi16ELi16ELi8ELi4ENS_8SequenceIJLi4ELi64ELi1EEEENS8_IJLi1ELi0ELi2EEEESA_Li2ELi8ELi8ELb0ELi1ES9_SA_SA_Li2ELi8ELi8ELb0ELi1ELi1ELi1ENS8_IJLi1ELi32ELi1ELi8EEEELi4ELNS_13LoopSchedulerE0ELNS_15PipelineVersionE0EDF16_Lb0EEEDF16_DF16_NS2_IJPKDF16_EEEDF16_S6_S6_S7_NS_16TensorDescriptorINS2_IJNS_5EmbedINS2_IJiiEEENS2_IJiNS_17integral_constantIiLi1EEEEEELb0EEENS_8RightPadIiiLb0EEESQ_NS_7UnMergeINS2_IJiNSL_IiLi8EEEEEELb0EEENS_11PassThroughIiEEEEENS2_IJNS8_IJLi0EEEENS8_IJLi1EEEENS8_IJLi2EEEENS8_IJLi4EEEENS8_IJLi3EEEEEEENS2_IJNS8_IJLi1ELi2EEEES12_S11_NS8_IJLi5ELi6EEEENS8_IJLi7EEEEEEENS8_IJLi5ELi7ELi6EEEElEES19_NS2_IJNSI_INS2_IJSO_SQ_SQ_NSR_INS2_IJiNSL_IiLi256EEEEEELb0EEENSR_INS2_IJiNSL_IiLi128EEEEEELb0EEEEEENS2_IJSY_SZ_S10_S12_S11_EEENS2_IJS14_S12_S11_S15_NS8_IJLi7ELi8EEEEEEENS8_IJLi5ELi6ELi7ELi8EEEElEEEEES1L_NS_31BlockToCTileMap_M00_N0_M01AdaptILi256ELi128ENSI_INS2_IJSO_SQ_SQ_EEENS2_IJSY_SZ_S10_EEENS2_IJS14_S12_S11_EEENS8_IJLi3ELi4EEEElEEiEELb0EEEvPKT0_PKT1_T2_PT3_T4_T5_T6_T7_T8_T9_T10_T11_,"axG",@progbits,_ZN2ck35kernel_gemm_multiple_d_xdl_cshuffleINS_34GridwiseGemmMultipleD_xdl_cshuffleIDF16_DF16_DF16_ffNS_5TupleIJDF16_EEEDF16_NS_16tensor_operation12element_wise11PassThroughES6_12AlphaBetaAddLi1ELi256ELi256ELi128ELi32ELi8ELi8ELi16ELi16ELi8ELi4ENS_8SequenceIJLi4ELi64ELi1EEEENS8_IJLi1ELi0ELi2EEEESA_Li2ELi8ELi8ELb0ELi1ES9_SA_SA_Li2ELi8ELi8ELb0ELi1ELi1ELi1ENS8_IJLi1ELi32ELi1ELi8EEEELi4ELNS_13LoopSchedulerE0ELNS_15PipelineVersionE0EDF16_Lb0EEEDF16_DF16_NS2_IJPKDF16_EEEDF16_S6_S6_S7_NS_16TensorDescriptorINS2_IJNS_5EmbedINS2_IJiiEEENS2_IJiNS_17integral_constantIiLi1EEEEEELb0EEENS_8RightPadIiiLb0EEESQ_NS_7UnMergeINS2_IJiNSL_IiLi8EEEEEELb0EEENS_11PassThroughIiEEEEENS2_IJNS8_IJLi0EEEENS8_IJLi1EEEENS8_IJLi2EEEENS8_IJLi4EEEENS8_IJLi3EEEEEEENS2_IJNS8_IJLi1ELi2EEEES12_S11_NS8_IJLi5ELi6EEEENS8_IJLi7EEEEEEENS8_IJLi5ELi7ELi6EEEElEES19_NS2_IJNSI_INS2_IJSO_SQ_SQ_NSR_INS2_IJiNSL_IiLi256EEEEEELb0EEENSR_INS2_IJiNSL_IiLi128EEEEEELb0EEEEEENS2_IJSY_SZ_S10_S12_S11_EEENS2_IJS14_S12_S11_S15_NS8_IJLi7ELi8EEEEEEENS8_IJLi5ELi6ELi7ELi8EEEElEEEEES1L_NS_31BlockToCTileMap_M00_N0_M01AdaptILi256ELi128ENSI_INS2_IJSO_SQ_SQ_EEENS2_IJSY_SZ_S10_EEENS2_IJS14_S12_S11_EEENS8_IJLi3ELi4EEEElEEiEELb0EEEvPKT0_PKT1_T2_PT3_T4_T5_T6_T7_T8_T9_T10_T11_,comdat
.Lfunc_end2:
	.size	_ZN2ck35kernel_gemm_multiple_d_xdl_cshuffleINS_34GridwiseGemmMultipleD_xdl_cshuffleIDF16_DF16_DF16_ffNS_5TupleIJDF16_EEEDF16_NS_16tensor_operation12element_wise11PassThroughES6_12AlphaBetaAddLi1ELi256ELi256ELi128ELi32ELi8ELi8ELi16ELi16ELi8ELi4ENS_8SequenceIJLi4ELi64ELi1EEEENS8_IJLi1ELi0ELi2EEEESA_Li2ELi8ELi8ELb0ELi1ES9_SA_SA_Li2ELi8ELi8ELb0ELi1ELi1ELi1ENS8_IJLi1ELi32ELi1ELi8EEEELi4ELNS_13LoopSchedulerE0ELNS_15PipelineVersionE0EDF16_Lb0EEEDF16_DF16_NS2_IJPKDF16_EEEDF16_S6_S6_S7_NS_16TensorDescriptorINS2_IJNS_5EmbedINS2_IJiiEEENS2_IJiNS_17integral_constantIiLi1EEEEEELb0EEENS_8RightPadIiiLb0EEESQ_NS_7UnMergeINS2_IJiNSL_IiLi8EEEEEELb0EEENS_11PassThroughIiEEEEENS2_IJNS8_IJLi0EEEENS8_IJLi1EEEENS8_IJLi2EEEENS8_IJLi4EEEENS8_IJLi3EEEEEEENS2_IJNS8_IJLi1ELi2EEEES12_S11_NS8_IJLi5ELi6EEEENS8_IJLi7EEEEEEENS8_IJLi5ELi7ELi6EEEElEES19_NS2_IJNSI_INS2_IJSO_SQ_SQ_NSR_INS2_IJiNSL_IiLi256EEEEEELb0EEENSR_INS2_IJiNSL_IiLi128EEEEEELb0EEEEEENS2_IJSY_SZ_S10_S12_S11_EEENS2_IJS14_S12_S11_S15_NS8_IJLi7ELi8EEEEEEENS8_IJLi5ELi6ELi7ELi8EEEElEEEEES1L_NS_31BlockToCTileMap_M00_N0_M01AdaptILi256ELi128ENSI_INS2_IJSO_SQ_SQ_EEENS2_IJSY_SZ_S10_EEENS2_IJS14_S12_S11_EEENS8_IJLi3ELi4EEEElEEiEELb0EEEvPKT0_PKT1_T2_PT3_T4_T5_T6_T7_T8_T9_T10_T11_, .Lfunc_end2-_ZN2ck35kernel_gemm_multiple_d_xdl_cshuffleINS_34GridwiseGemmMultipleD_xdl_cshuffleIDF16_DF16_DF16_ffNS_5TupleIJDF16_EEEDF16_NS_16tensor_operation12element_wise11PassThroughES6_12AlphaBetaAddLi1ELi256ELi256ELi128ELi32ELi8ELi8ELi16ELi16ELi8ELi4ENS_8SequenceIJLi4ELi64ELi1EEEENS8_IJLi1ELi0ELi2EEEESA_Li2ELi8ELi8ELb0ELi1ES9_SA_SA_Li2ELi8ELi8ELb0ELi1ELi1ELi1ENS8_IJLi1ELi32ELi1ELi8EEEELi4ELNS_13LoopSchedulerE0ELNS_15PipelineVersionE0EDF16_Lb0EEEDF16_DF16_NS2_IJPKDF16_EEEDF16_S6_S6_S7_NS_16TensorDescriptorINS2_IJNS_5EmbedINS2_IJiiEEENS2_IJiNS_17integral_constantIiLi1EEEEEELb0EEENS_8RightPadIiiLb0EEESQ_NS_7UnMergeINS2_IJiNSL_IiLi8EEEEEELb0EEENS_11PassThroughIiEEEEENS2_IJNS8_IJLi0EEEENS8_IJLi1EEEENS8_IJLi2EEEENS8_IJLi4EEEENS8_IJLi3EEEEEEENS2_IJNS8_IJLi1ELi2EEEES12_S11_NS8_IJLi5ELi6EEEENS8_IJLi7EEEEEEENS8_IJLi5ELi7ELi6EEEElEES19_NS2_IJNSI_INS2_IJSO_SQ_SQ_NSR_INS2_IJiNSL_IiLi256EEEEEELb0EEENSR_INS2_IJiNSL_IiLi128EEEEEELb0EEEEEENS2_IJSY_SZ_S10_S12_S11_EEENS2_IJS14_S12_S11_S15_NS8_IJLi7ELi8EEEEEEENS8_IJLi5ELi6ELi7ELi8EEEElEEEEES1L_NS_31BlockToCTileMap_M00_N0_M01AdaptILi256ELi128ENSI_INS2_IJSO_SQ_SQ_EEENS2_IJSY_SZ_S10_EEENS2_IJS14_S12_S11_EEENS8_IJLi3ELi4EEEElEEiEELb0EEEvPKT0_PKT1_T2_PT3_T4_T5_T6_T7_T8_T9_T10_T11_
                                        ; -- End function
	.section	.AMDGPU.csdata,"",@progbits
; Kernel info:
; codeLenInByte = 4
; NumSgprs: 0
; NumVgprs: 0
; ScratchSize: 0
; MemoryBound: 0
; FloatMode: 240
; IeeeMode: 1
; LDSByteSize: 0 bytes/workgroup (compile time only)
; SGPRBlocks: 0
; VGPRBlocks: 0
; NumSGPRsForWavesPerEU: 1
; NumVGPRsForWavesPerEU: 1
; Occupancy: 16
; WaveLimiterHint : 0
; COMPUTE_PGM_RSRC2:SCRATCH_EN: 0
; COMPUTE_PGM_RSRC2:USER_SGPR: 15
; COMPUTE_PGM_RSRC2:TRAP_HANDLER: 0
; COMPUTE_PGM_RSRC2:TGID_X_EN: 1
; COMPUTE_PGM_RSRC2:TGID_Y_EN: 0
; COMPUTE_PGM_RSRC2:TGID_Z_EN: 0
; COMPUTE_PGM_RSRC2:TIDIG_COMP_CNT: 0
	.section	.text._ZN2ck35kernel_gemm_multiple_d_xdl_cshuffleINS_34GridwiseGemmMultipleD_xdl_cshuffleIDF16_DF16_DF16_ffNS_5TupleIJDF16_EEEDF16_NS_16tensor_operation12element_wise11PassThroughES6_12AlphaBetaAddLi1ELi256ELi256ELi128ELi32ELi8ELi8ELi16ELi16ELi8ELi2ENS_8SequenceIJLi4ELi64ELi1EEEENS8_IJLi1ELi0ELi2EEEESA_Li2ELi8ELi8ELb0ELi1ES9_SA_SA_Li2ELi8ELi8ELb0ELi1ELi1ELi1ENS8_IJLi1ELi32ELi1ELi8EEEELi4ELNS_13LoopSchedulerE0ELNS_15PipelineVersionE0EDF16_Lb0EEEDF16_DF16_NS2_IJPKDF16_EEEDF16_S6_S6_S7_NS_16TensorDescriptorINS2_IJNS_5EmbedINS2_IJiiEEENS2_IJiNS_17integral_constantIiLi1EEEEEELb0EEENS_8RightPadIiiLb0EEESQ_NS_7UnMergeINS2_IJiNSL_IiLi8EEEEEELb0EEENS_11PassThroughIiEEEEENS2_IJNS8_IJLi0EEEENS8_IJLi1EEEENS8_IJLi2EEEENS8_IJLi4EEEENS8_IJLi3EEEEEEENS2_IJNS8_IJLi1ELi2EEEES12_S11_NS8_IJLi5ELi6EEEENS8_IJLi7EEEEEEENS8_IJLi5ELi7ELi6EEEElEES19_NS2_IJNSI_INS2_IJSO_SQ_SQ_NSR_INS2_IJiNSL_IiLi256EEEEEELb0EEENSR_INS2_IJiNSL_IiLi128EEEEEELb0EEEEEENS2_IJSY_SZ_S10_S12_S11_EEENS2_IJS14_S12_S11_S15_NS8_IJLi7ELi8EEEEEEENS8_IJLi5ELi6ELi7ELi8EEEElEEEEES1L_NS_31BlockToCTileMap_M00_N0_M01AdaptILi256ELi128ENSI_INS2_IJSO_SQ_SQ_EEENS2_IJSY_SZ_S10_EEENS2_IJS14_S12_S11_EEENS8_IJLi3ELi4EEEElEEiEELb1EEEvPKT0_PKT1_T2_PT3_T4_T5_T6_T7_T8_T9_T10_T11_,"axG",@progbits,_ZN2ck35kernel_gemm_multiple_d_xdl_cshuffleINS_34GridwiseGemmMultipleD_xdl_cshuffleIDF16_DF16_DF16_ffNS_5TupleIJDF16_EEEDF16_NS_16tensor_operation12element_wise11PassThroughES6_12AlphaBetaAddLi1ELi256ELi256ELi128ELi32ELi8ELi8ELi16ELi16ELi8ELi2ENS_8SequenceIJLi4ELi64ELi1EEEENS8_IJLi1ELi0ELi2EEEESA_Li2ELi8ELi8ELb0ELi1ES9_SA_SA_Li2ELi8ELi8ELb0ELi1ELi1ELi1ENS8_IJLi1ELi32ELi1ELi8EEEELi4ELNS_13LoopSchedulerE0ELNS_15PipelineVersionE0EDF16_Lb0EEEDF16_DF16_NS2_IJPKDF16_EEEDF16_S6_S6_S7_NS_16TensorDescriptorINS2_IJNS_5EmbedINS2_IJiiEEENS2_IJiNS_17integral_constantIiLi1EEEEEELb0EEENS_8RightPadIiiLb0EEESQ_NS_7UnMergeINS2_IJiNSL_IiLi8EEEEEELb0EEENS_11PassThroughIiEEEEENS2_IJNS8_IJLi0EEEENS8_IJLi1EEEENS8_IJLi2EEEENS8_IJLi4EEEENS8_IJLi3EEEEEEENS2_IJNS8_IJLi1ELi2EEEES12_S11_NS8_IJLi5ELi6EEEENS8_IJLi7EEEEEEENS8_IJLi5ELi7ELi6EEEElEES19_NS2_IJNSI_INS2_IJSO_SQ_SQ_NSR_INS2_IJiNSL_IiLi256EEEEEELb0EEENSR_INS2_IJiNSL_IiLi128EEEEEELb0EEEEEENS2_IJSY_SZ_S10_S12_S11_EEENS2_IJS14_S12_S11_S15_NS8_IJLi7ELi8EEEEEEENS8_IJLi5ELi6ELi7ELi8EEEElEEEEES1L_NS_31BlockToCTileMap_M00_N0_M01AdaptILi256ELi128ENSI_INS2_IJSO_SQ_SQ_EEENS2_IJSY_SZ_S10_EEENS2_IJS14_S12_S11_EEENS8_IJLi3ELi4EEEElEEiEELb1EEEvPKT0_PKT1_T2_PT3_T4_T5_T6_T7_T8_T9_T10_T11_,comdat
	.protected	_ZN2ck35kernel_gemm_multiple_d_xdl_cshuffleINS_34GridwiseGemmMultipleD_xdl_cshuffleIDF16_DF16_DF16_ffNS_5TupleIJDF16_EEEDF16_NS_16tensor_operation12element_wise11PassThroughES6_12AlphaBetaAddLi1ELi256ELi256ELi128ELi32ELi8ELi8ELi16ELi16ELi8ELi2ENS_8SequenceIJLi4ELi64ELi1EEEENS8_IJLi1ELi0ELi2EEEESA_Li2ELi8ELi8ELb0ELi1ES9_SA_SA_Li2ELi8ELi8ELb0ELi1ELi1ELi1ENS8_IJLi1ELi32ELi1ELi8EEEELi4ELNS_13LoopSchedulerE0ELNS_15PipelineVersionE0EDF16_Lb0EEEDF16_DF16_NS2_IJPKDF16_EEEDF16_S6_S6_S7_NS_16TensorDescriptorINS2_IJNS_5EmbedINS2_IJiiEEENS2_IJiNS_17integral_constantIiLi1EEEEEELb0EEENS_8RightPadIiiLb0EEESQ_NS_7UnMergeINS2_IJiNSL_IiLi8EEEEEELb0EEENS_11PassThroughIiEEEEENS2_IJNS8_IJLi0EEEENS8_IJLi1EEEENS8_IJLi2EEEENS8_IJLi4EEEENS8_IJLi3EEEEEEENS2_IJNS8_IJLi1ELi2EEEES12_S11_NS8_IJLi5ELi6EEEENS8_IJLi7EEEEEEENS8_IJLi5ELi7ELi6EEEElEES19_NS2_IJNSI_INS2_IJSO_SQ_SQ_NSR_INS2_IJiNSL_IiLi256EEEEEELb0EEENSR_INS2_IJiNSL_IiLi128EEEEEELb0EEEEEENS2_IJSY_SZ_S10_S12_S11_EEENS2_IJS14_S12_S11_S15_NS8_IJLi7ELi8EEEEEEENS8_IJLi5ELi6ELi7ELi8EEEElEEEEES1L_NS_31BlockToCTileMap_M00_N0_M01AdaptILi256ELi128ENSI_INS2_IJSO_SQ_SQ_EEENS2_IJSY_SZ_S10_EEENS2_IJS14_S12_S11_EEENS8_IJLi3ELi4EEEElEEiEELb1EEEvPKT0_PKT1_T2_PT3_T4_T5_T6_T7_T8_T9_T10_T11_ ; -- Begin function _ZN2ck35kernel_gemm_multiple_d_xdl_cshuffleINS_34GridwiseGemmMultipleD_xdl_cshuffleIDF16_DF16_DF16_ffNS_5TupleIJDF16_EEEDF16_NS_16tensor_operation12element_wise11PassThroughES6_12AlphaBetaAddLi1ELi256ELi256ELi128ELi32ELi8ELi8ELi16ELi16ELi8ELi2ENS_8SequenceIJLi4ELi64ELi1EEEENS8_IJLi1ELi0ELi2EEEESA_Li2ELi8ELi8ELb0ELi1ES9_SA_SA_Li2ELi8ELi8ELb0ELi1ELi1ELi1ENS8_IJLi1ELi32ELi1ELi8EEEELi4ELNS_13LoopSchedulerE0ELNS_15PipelineVersionE0EDF16_Lb0EEEDF16_DF16_NS2_IJPKDF16_EEEDF16_S6_S6_S7_NS_16TensorDescriptorINS2_IJNS_5EmbedINS2_IJiiEEENS2_IJiNS_17integral_constantIiLi1EEEEEELb0EEENS_8RightPadIiiLb0EEESQ_NS_7UnMergeINS2_IJiNSL_IiLi8EEEEEELb0EEENS_11PassThroughIiEEEEENS2_IJNS8_IJLi0EEEENS8_IJLi1EEEENS8_IJLi2EEEENS8_IJLi4EEEENS8_IJLi3EEEEEEENS2_IJNS8_IJLi1ELi2EEEES12_S11_NS8_IJLi5ELi6EEEENS8_IJLi7EEEEEEENS8_IJLi5ELi7ELi6EEEElEES19_NS2_IJNSI_INS2_IJSO_SQ_SQ_NSR_INS2_IJiNSL_IiLi256EEEEEELb0EEENSR_INS2_IJiNSL_IiLi128EEEEEELb0EEEEEENS2_IJSY_SZ_S10_S12_S11_EEENS2_IJS14_S12_S11_S15_NS8_IJLi7ELi8EEEEEEENS8_IJLi5ELi6ELi7ELi8EEEElEEEEES1L_NS_31BlockToCTileMap_M00_N0_M01AdaptILi256ELi128ENSI_INS2_IJSO_SQ_SQ_EEENS2_IJSY_SZ_S10_EEENS2_IJS14_S12_S11_EEENS8_IJLi3ELi4EEEElEEiEELb1EEEvPKT0_PKT1_T2_PT3_T4_T5_T6_T7_T8_T9_T10_T11_
	.globl	_ZN2ck35kernel_gemm_multiple_d_xdl_cshuffleINS_34GridwiseGemmMultipleD_xdl_cshuffleIDF16_DF16_DF16_ffNS_5TupleIJDF16_EEEDF16_NS_16tensor_operation12element_wise11PassThroughES6_12AlphaBetaAddLi1ELi256ELi256ELi128ELi32ELi8ELi8ELi16ELi16ELi8ELi2ENS_8SequenceIJLi4ELi64ELi1EEEENS8_IJLi1ELi0ELi2EEEESA_Li2ELi8ELi8ELb0ELi1ES9_SA_SA_Li2ELi8ELi8ELb0ELi1ELi1ELi1ENS8_IJLi1ELi32ELi1ELi8EEEELi4ELNS_13LoopSchedulerE0ELNS_15PipelineVersionE0EDF16_Lb0EEEDF16_DF16_NS2_IJPKDF16_EEEDF16_S6_S6_S7_NS_16TensorDescriptorINS2_IJNS_5EmbedINS2_IJiiEEENS2_IJiNS_17integral_constantIiLi1EEEEEELb0EEENS_8RightPadIiiLb0EEESQ_NS_7UnMergeINS2_IJiNSL_IiLi8EEEEEELb0EEENS_11PassThroughIiEEEEENS2_IJNS8_IJLi0EEEENS8_IJLi1EEEENS8_IJLi2EEEENS8_IJLi4EEEENS8_IJLi3EEEEEEENS2_IJNS8_IJLi1ELi2EEEES12_S11_NS8_IJLi5ELi6EEEENS8_IJLi7EEEEEEENS8_IJLi5ELi7ELi6EEEElEES19_NS2_IJNSI_INS2_IJSO_SQ_SQ_NSR_INS2_IJiNSL_IiLi256EEEEEELb0EEENSR_INS2_IJiNSL_IiLi128EEEEEELb0EEEEEENS2_IJSY_SZ_S10_S12_S11_EEENS2_IJS14_S12_S11_S15_NS8_IJLi7ELi8EEEEEEENS8_IJLi5ELi6ELi7ELi8EEEElEEEEES1L_NS_31BlockToCTileMap_M00_N0_M01AdaptILi256ELi128ENSI_INS2_IJSO_SQ_SQ_EEENS2_IJSY_SZ_S10_EEENS2_IJS14_S12_S11_EEENS8_IJLi3ELi4EEEElEEiEELb1EEEvPKT0_PKT1_T2_PT3_T4_T5_T6_T7_T8_T9_T10_T11_
	.p2align	8
	.type	_ZN2ck35kernel_gemm_multiple_d_xdl_cshuffleINS_34GridwiseGemmMultipleD_xdl_cshuffleIDF16_DF16_DF16_ffNS_5TupleIJDF16_EEEDF16_NS_16tensor_operation12element_wise11PassThroughES6_12AlphaBetaAddLi1ELi256ELi256ELi128ELi32ELi8ELi8ELi16ELi16ELi8ELi2ENS_8SequenceIJLi4ELi64ELi1EEEENS8_IJLi1ELi0ELi2EEEESA_Li2ELi8ELi8ELb0ELi1ES9_SA_SA_Li2ELi8ELi8ELb0ELi1ELi1ELi1ENS8_IJLi1ELi32ELi1ELi8EEEELi4ELNS_13LoopSchedulerE0ELNS_15PipelineVersionE0EDF16_Lb0EEEDF16_DF16_NS2_IJPKDF16_EEEDF16_S6_S6_S7_NS_16TensorDescriptorINS2_IJNS_5EmbedINS2_IJiiEEENS2_IJiNS_17integral_constantIiLi1EEEEEELb0EEENS_8RightPadIiiLb0EEESQ_NS_7UnMergeINS2_IJiNSL_IiLi8EEEEEELb0EEENS_11PassThroughIiEEEEENS2_IJNS8_IJLi0EEEENS8_IJLi1EEEENS8_IJLi2EEEENS8_IJLi4EEEENS8_IJLi3EEEEEEENS2_IJNS8_IJLi1ELi2EEEES12_S11_NS8_IJLi5ELi6EEEENS8_IJLi7EEEEEEENS8_IJLi5ELi7ELi6EEEElEES19_NS2_IJNSI_INS2_IJSO_SQ_SQ_NSR_INS2_IJiNSL_IiLi256EEEEEELb0EEENSR_INS2_IJiNSL_IiLi128EEEEEELb0EEEEEENS2_IJSY_SZ_S10_S12_S11_EEENS2_IJS14_S12_S11_S15_NS8_IJLi7ELi8EEEEEEENS8_IJLi5ELi6ELi7ELi8EEEElEEEEES1L_NS_31BlockToCTileMap_M00_N0_M01AdaptILi256ELi128ENSI_INS2_IJSO_SQ_SQ_EEENS2_IJSY_SZ_S10_EEENS2_IJS14_S12_S11_EEENS8_IJLi3ELi4EEEElEEiEELb1EEEvPKT0_PKT1_T2_PT3_T4_T5_T6_T7_T8_T9_T10_T11_,@function
_ZN2ck35kernel_gemm_multiple_d_xdl_cshuffleINS_34GridwiseGemmMultipleD_xdl_cshuffleIDF16_DF16_DF16_ffNS_5TupleIJDF16_EEEDF16_NS_16tensor_operation12element_wise11PassThroughES6_12AlphaBetaAddLi1ELi256ELi256ELi128ELi32ELi8ELi8ELi16ELi16ELi8ELi2ENS_8SequenceIJLi4ELi64ELi1EEEENS8_IJLi1ELi0ELi2EEEESA_Li2ELi8ELi8ELb0ELi1ES9_SA_SA_Li2ELi8ELi8ELb0ELi1ELi1ELi1ENS8_IJLi1ELi32ELi1ELi8EEEELi4ELNS_13LoopSchedulerE0ELNS_15PipelineVersionE0EDF16_Lb0EEEDF16_DF16_NS2_IJPKDF16_EEEDF16_S6_S6_S7_NS_16TensorDescriptorINS2_IJNS_5EmbedINS2_IJiiEEENS2_IJiNS_17integral_constantIiLi1EEEEEELb0EEENS_8RightPadIiiLb0EEESQ_NS_7UnMergeINS2_IJiNSL_IiLi8EEEEEELb0EEENS_11PassThroughIiEEEEENS2_IJNS8_IJLi0EEEENS8_IJLi1EEEENS8_IJLi2EEEENS8_IJLi4EEEENS8_IJLi3EEEEEEENS2_IJNS8_IJLi1ELi2EEEES12_S11_NS8_IJLi5ELi6EEEENS8_IJLi7EEEEEEENS8_IJLi5ELi7ELi6EEEElEES19_NS2_IJNSI_INS2_IJSO_SQ_SQ_NSR_INS2_IJiNSL_IiLi256EEEEEELb0EEENSR_INS2_IJiNSL_IiLi128EEEEEELb0EEEEEENS2_IJSY_SZ_S10_S12_S11_EEENS2_IJS14_S12_S11_S15_NS8_IJLi7ELi8EEEEEEENS8_IJLi5ELi6ELi7ELi8EEEElEEEEES1L_NS_31BlockToCTileMap_M00_N0_M01AdaptILi256ELi128ENSI_INS2_IJSO_SQ_SQ_EEENS2_IJSY_SZ_S10_EEENS2_IJS14_S12_S11_EEENS8_IJLi3ELi4EEEElEEiEELb1EEEvPKT0_PKT1_T2_PT3_T4_T5_T6_T7_T8_T9_T10_T11_: ; @_ZN2ck35kernel_gemm_multiple_d_xdl_cshuffleINS_34GridwiseGemmMultipleD_xdl_cshuffleIDF16_DF16_DF16_ffNS_5TupleIJDF16_EEEDF16_NS_16tensor_operation12element_wise11PassThroughES6_12AlphaBetaAddLi1ELi256ELi256ELi128ELi32ELi8ELi8ELi16ELi16ELi8ELi2ENS_8SequenceIJLi4ELi64ELi1EEEENS8_IJLi1ELi0ELi2EEEESA_Li2ELi8ELi8ELb0ELi1ES9_SA_SA_Li2ELi8ELi8ELb0ELi1ELi1ELi1ENS8_IJLi1ELi32ELi1ELi8EEEELi4ELNS_13LoopSchedulerE0ELNS_15PipelineVersionE0EDF16_Lb0EEEDF16_DF16_NS2_IJPKDF16_EEEDF16_S6_S6_S7_NS_16TensorDescriptorINS2_IJNS_5EmbedINS2_IJiiEEENS2_IJiNS_17integral_constantIiLi1EEEEEELb0EEENS_8RightPadIiiLb0EEESQ_NS_7UnMergeINS2_IJiNSL_IiLi8EEEEEELb0EEENS_11PassThroughIiEEEEENS2_IJNS8_IJLi0EEEENS8_IJLi1EEEENS8_IJLi2EEEENS8_IJLi4EEEENS8_IJLi3EEEEEEENS2_IJNS8_IJLi1ELi2EEEES12_S11_NS8_IJLi5ELi6EEEENS8_IJLi7EEEEEEENS8_IJLi5ELi7ELi6EEEElEES19_NS2_IJNSI_INS2_IJSO_SQ_SQ_NSR_INS2_IJiNSL_IiLi256EEEEEELb0EEENSR_INS2_IJiNSL_IiLi128EEEEEELb0EEEEEENS2_IJSY_SZ_S10_S12_S11_EEENS2_IJS14_S12_S11_S15_NS8_IJLi7ELi8EEEEEEENS8_IJLi5ELi6ELi7ELi8EEEElEEEEES1L_NS_31BlockToCTileMap_M00_N0_M01AdaptILi256ELi128ENSI_INS2_IJSO_SQ_SQ_EEENS2_IJSY_SZ_S10_EEENS2_IJS14_S12_S11_EEENS8_IJLi3ELi4EEEElEEiEELb1EEEvPKT0_PKT1_T2_PT3_T4_T5_T6_T7_T8_T9_T10_T11_
; %bb.0:
	s_clause 0x1
	s_load_b128 s[20:23], s[0:1], 0x158
	s_load_b32 s2, s[0:1], 0x168
	s_abs_i32 s9, s15
	v_lshrrev_b32_e32 v145, 1, v0
	s_load_b32 s18, s[0:1], 0xb8
	s_mov_b32 s19, 0x31004000
	v_mov_b32_e32 v9, 0
	v_and_b32_e32 v143, 0xfc, v0
	v_and_b32_e32 v134, 0x7e, v145
	s_mov_b32 s27, s19
	s_delay_alu instid0(VALU_DEP_3)
	v_dual_mov_b32 v13, v9 :: v_dual_lshlrev_b32 v146, 3, v0
	v_mov_b32_e32 v12, v9
	v_mov_b32_e32 v20, v9
	v_bfe_u32 v148, v0, 1, 3
	v_dual_mov_b32 v8, v9 :: v_dual_and_b32 v149, 0x80, v0
	v_dual_mov_b32 v18, v9 :: v_dual_and_b32 v147, 15, v0
	;; [unrolled: 1-line block ×3, first 2 shown]
	s_waitcnt lgkmcnt(0)
	s_add_i32 s3, s22, 0xff
	s_add_i32 s4, s23, 0x7f
	s_ashr_i32 s5, s3, 31
	s_ashr_i32 s6, s4, 31
	s_lshr_b32 s5, s5, 24
	s_lshr_b32 s6, s6, 25
	s_add_i32 s3, s3, s5
	s_add_i32 s4, s4, s6
	s_ashr_i32 s5, s3, 8
	s_ashr_i32 s8, s4, 7
	v_dual_mov_b32 v22, v9 :: v_dual_lshlrev_b32 v149, 1, v149
	s_mul_i32 s4, s8, s5
	v_and_or_b32 v148, v146, 8, v148
	s_abs_i32 s4, s4
	v_mov_b32_e32 v21, v9
	v_cvt_f32_u32_e32 v1, s4
	s_sub_i32 s7, 0, s4
	v_lshl_or_b32 v148, v148, 4, v149
	v_lshl_or_b32 v149, v147, 4, v154
	v_mov_b32_e32 v23, v9
	v_rcp_iflag_f32_e32 v1, v1
	v_mov_b32_e32 v25, v9
	v_mov_b32_e32 v27, v9
	;; [unrolled: 1-line block ×5, first 2 shown]
	v_dual_mov_b32 v31, v9 :: v_dual_and_b32 v132, 3, v0
	v_mov_b32_e32 v32, v9
	v_mov_b32_e32 v41, v9
	s_delay_alu instid0(TRANS32_DEP_1) | instskip(NEXT) | instid1(VALU_DEP_4)
	v_dual_mul_f32 v1, 0x4f7ffffe, v1 :: v_dual_mov_b32 v42, v9
	v_dual_mov_b32 v14, v9 :: v_dual_lshlrev_b32 v133, 3, v132
	v_mul_u32_u24_e32 v152, 0x1010, v132
	s_delay_alu instid0(VALU_DEP_3) | instskip(SKIP_1) | instid1(VALU_DEP_4)
	v_cvt_u32_f32_e32 v1, v1
	v_mul_u32_u24_e32 v153, 0x810, v132
	v_or_b32_e32 v151, 32, v133
	v_mov_b32_e32 v43, v9
	v_mov_b32_e32 v44, v9
	v_readfirstlane_b32 s6, v1
	v_mov_b32_e32 v45, v9
	v_mov_b32_e32 v46, v9
	;; [unrolled: 1-line block ×4, first 2 shown]
	s_mul_i32 s7, s7, s6
	v_mov_b32_e32 v33, v9
	s_mul_hi_u32 s7, s6, s7
	v_mov_b32_e32 v34, v9
	s_add_i32 s6, s6, s7
	s_ashr_i32 s7, s15, 31
	s_mul_hi_u32 s6, s9, s6
	v_mov_b32_e32 v35, v9
	s_mul_i32 s6, s6, s4
	v_mov_b32_e32 v36, v9
	s_sub_i32 s6, s9, s6
	v_mov_b32_e32 v37, v9
	s_sub_i32 s9, s6, s4
	s_cmp_ge_u32 s6, s4
	v_mov_b32_e32 v38, v9
	s_cselect_b32 s6, s9, s6
	v_mov_b32_e32 v39, v9
	s_sub_i32 s9, s6, s4
	s_cmp_ge_u32 s6, s4
	v_mov_b32_e32 v40, v9
	s_cselect_b32 s4, s9, s6
	s_abs_i32 s6, s8
	s_xor_b32 s4, s4, s7
	v_cvt_f32_u32_e32 v1, s6
	s_sub_i32 s10, 0, s6
	s_sub_i32 s4, s4, s7
	v_mov_b32_e32 v49, v9
	v_mov_b32_e32 v50, v9
	v_rcp_iflag_f32_e32 v1, v1
	v_mov_b32_e32 v51, v9
	v_mov_b32_e32 v52, v9
	;; [unrolled: 1-line block ×9, first 2 shown]
	v_dual_mul_f32 v1, 0x4f7ffffe, v1 :: v_dual_mov_b32 v60, v9
	v_mov_b32_e32 v61, v9
	v_mov_b32_e32 v62, v9
	;; [unrolled: 1-line block ×3, first 2 shown]
	s_delay_alu instid0(VALU_DEP_4)
	v_cvt_u32_f32_e32 v1, v1
	v_mov_b32_e32 v64, v9
	v_mov_b32_e32 v73, v9
	;; [unrolled: 1-line block ×4, first 2 shown]
	v_readfirstlane_b32 s9, v1
	v_mov_b32_e32 v76, v9
	v_mov_b32_e32 v77, v9
	;; [unrolled: 1-line block ×4, first 2 shown]
	s_mul_i32 s10, s10, s9
	v_mov_b32_e32 v80, v9
	s_mul_hi_u32 s7, s9, s10
	s_abs_i32 s10, s4
	s_add_i32 s9, s9, s7
	v_mov_b32_e32 v65, v9
	s_mul_hi_u32 s7, s10, s9
	s_xor_b32 s9, s4, s8
	s_mul_i32 s11, s7, s6
	s_ashr_i32 s9, s9, 31
	s_sub_i32 s10, s10, s11
	s_add_i32 s11, s7, 1
	s_sub_i32 s12, s10, s6
	s_cmp_ge_u32 s10, s6
	v_mov_b32_e32 v66, v9
	s_cselect_b32 s7, s11, s7
	s_cselect_b32 s10, s12, s10
	s_add_i32 s11, s7, 1
	s_cmp_ge_u32 s10, s6
	v_mov_b32_e32 v67, v9
	s_cselect_b32 s6, s11, s7
	s_abs_i32 s7, s2
	s_abs_i32 s12, s5
	v_cvt_f32_u32_e32 v1, s7
	s_sub_i32 s11, 0, s7
	s_xor_b32 s6, s6, s9
	s_ashr_i32 s3, s3, 31
	v_mov_b32_e32 v68, v9
	v_rcp_iflag_f32_e32 v1, v1
	v_mov_b32_e32 v69, v9
	v_mov_b32_e32 v70, v9
	;; [unrolled: 1-line block ×9, first 2 shown]
	v_dual_mul_f32 v1, 0x4f7ffffe, v1 :: v_dual_mov_b32 v86, v9
	v_mov_b32_e32 v87, v9
	v_mov_b32_e32 v88, v9
	;; [unrolled: 1-line block ×3, first 2 shown]
	s_delay_alu instid0(VALU_DEP_4)
	v_cvt_u32_f32_e32 v1, v1
	v_mov_b32_e32 v90, v9
	v_mov_b32_e32 v91, v9
	;; [unrolled: 1-line block ×4, first 2 shown]
	v_readfirstlane_b32 s10, v1
	v_mov_b32_e32 v94, v9
	v_mov_b32_e32 v95, v9
	;; [unrolled: 1-line block ×4, first 2 shown]
	s_mul_i32 s11, s11, s10
	v_mov_b32_e32 v106, v9
	s_mul_hi_u32 s11, s10, s11
	v_mov_b32_e32 v107, v9
	s_add_i32 s10, s10, s11
	v_mov_b32_e32 v108, v9
	s_mul_hi_u32 s11, s12, s10
	v_mov_b32_e32 v109, v9
	s_mul_i32 s11, s11, s7
	v_mov_b32_e32 v110, v9
	s_sub_i32 s11, s12, s11
	s_sub_i32 s12, s6, s9
	s_sub_i32 s6, s11, s7
	s_cmp_ge_u32 s11, s7
	v_mov_b32_e32 v111, v9
	s_cselect_b32 s6, s6, s11
	v_mov_b32_e32 v112, v9
	s_sub_i32 s9, s6, s7
	s_cmp_ge_u32 s6, s7
	v_mov_b32_e32 v97, v9
	s_cselect_b32 s6, s9, s6
	v_mov_b32_e32 v98, v9
	s_xor_b32 s6, s6, s3
	v_mov_b32_e32 v99, v9
	s_sub_i32 s3, s6, s3
	v_mov_b32_e32 v100, v9
	s_sub_i32 s5, s5, s3
	v_mov_b32_e32 v101, v9
	s_cmp_lt_i32 s12, s5
	s_mul_i32 s5, s12, s8
	s_cselect_b32 s11, s2, s3
	s_abs_i32 s2, s12
	s_sub_i32 s9, s4, s5
	s_mul_hi_u32 s3, s2, s10
	v_mov_b32_e32 v102, v9
	s_mul_i32 s3, s3, s7
	v_mov_b32_e32 v103, v9
	s_sub_i32 s2, s2, s3
	s_ashr_i32 s3, s12, 31
	s_sub_i32 s4, s2, s7
	s_cmp_ge_u32 s2, s7
	v_mov_b32_e32 v104, v9
	s_cselect_b32 s2, s4, s2
	v_mov_b32_e32 v113, v9
	s_sub_i32 s4, s2, s7
	s_cmp_ge_u32 s2, s7
	v_mov_b32_e32 v114, v9
	s_cselect_b32 s2, s4, s2
	s_abs_i32 s10, s11
	s_xor_b32 s2, s2, s3
	v_cvt_f32_u32_e32 v1, s10
	s_sub_i32 s14, s2, s3
	s_sub_i32 s2, 0, s10
	s_mul_i32 s3, s14, s8
	s_load_b128 s[4:7], s[0:1], 0x0
	v_rcp_iflag_f32_e32 v1, v1
	s_add_i32 s8, s3, s9
	v_mov_b32_e32 v115, v9
	s_abs_i32 s9, s8
	s_xor_b32 s15, s8, s11
	v_mov_b32_e32 v116, v9
	s_ashr_i32 s15, s15, 31
	v_mov_b32_e32 v117, v9
	v_mov_b32_e32 v118, v9
	;; [unrolled: 1-line block ×3, first 2 shown]
	s_waitcnt_depctr 0xfff
	v_dual_mul_f32 v1, 0x4f7ffffe, v1 :: v_dual_mov_b32 v120, v9
	v_mov_b32_e32 v121, v9
	v_mov_b32_e32 v122, v9
	;; [unrolled: 1-line block ×3, first 2 shown]
	s_delay_alu instid0(VALU_DEP_4)
	v_cvt_u32_f32_e32 v1, v1
	v_mov_b32_e32 v124, v9
	v_mov_b32_e32 v125, v9
	;; [unrolled: 1-line block ×4, first 2 shown]
	v_readfirstlane_b32 s13, v1
	v_mov_b32_e32 v128, v9
	v_mov_b32_e32 v10, v9
	;; [unrolled: 1-line block ×4, first 2 shown]
	s_mul_i32 s2, s2, s13
	v_mov_b32_e32 v4, v9
	s_mul_hi_u32 s2, s13, s2
	v_mov_b32_e32 v6, v9
	s_add_i32 s13, s13, s2
	s_clause 0x1
	s_load_b32 s3, s[0:1], 0x80
	s_load_b32 s2, s[0:1], 0x8c
	s_mul_hi_u32 s13, s9, s13
	v_lshlrev_b32_e32 v150, 4, v132
	s_mul_i32 s16, s13, s10
	s_delay_alu instid0(SALU_CYCLE_1)
	s_sub_i32 s9, s9, s16
	s_add_i32 s16, s13, 1
	s_sub_i32 s17, s9, s10
	s_cmp_ge_u32 s9, s10
	s_cselect_b32 s13, s16, s13
	s_cselect_b32 s9, s17, s9
	s_add_i32 s16, s13, 1
	s_cmp_ge_u32 s9, s10
	s_cselect_b32 s9, s16, s13
	s_sub_i32 s33, s12, s14
	s_xor_b32 s10, s9, s15
	s_load_b32 s9, s[0:1], 0x38
	s_sub_i32 s10, s10, s15
	s_load_b64 s[12:13], s[0:1], 0x18
	s_mul_i32 s11, s10, s11
	s_lshl_b32 s31, s10, 7
	s_sub_i32 s8, s8, s11
	v_add_nc_u32_e32 v131, s31, v134
	s_add_i32 s33, s33, s8
	s_waitcnt lgkmcnt(0)
	s_mov_b32 s24, s6
	s_lshl_b32 s8, s33, 8
	s_mov_b32 s25, s7
	v_mul_lo_u32 v129, v131, s3
	v_add_nc_u32_e32 v130, s8, v143
	s_clause 0x3
	s_load_b32 s36, s[0:1], 0x44
	s_load_b32 s34, s[0:1], 0x50
	;; [unrolled: 1-line block ×4, first 2 shown]
	s_lshl_b32 s26, s18, 1
	s_clause 0x5
	s_load_b32 s23, s[0:1], 0xc8
	s_load_b32 s22, s[0:1], 0xd4
	s_load_b32 s29, s[0:1], 0xe0
	s_load_b64 s[14:15], s[0:1], 0x108
	s_load_b32 s28, s[0:1], 0x118
	s_load_b32 s21, s[0:1], 0x124
	s_mov_b32 s16, s4
	s_mov_b32 s17, s5
	v_lshlrev_b32_e32 v143, 4, v143
	v_add_nc_u32_e32 v1, v129, v133
	v_mul_lo_u32 v144, v130, s9
	v_dual_mov_b32 v7, v9 :: v_dual_lshlrev_b32 v134, 4, v134
	s_delay_alu instid0(VALU_DEP_4) | instskip(NEXT) | instid1(VALU_DEP_4)
	v_mad_u32_u24 v176, 0x1010, v132, v143
	v_lshlrev_b32_e32 v2, 1, v1
	v_add_lshl_u32 v1, v1, s3, 1
	s_delay_alu instid0(VALU_DEP_4)
	v_mad_u32_u24 v177, 0x810, v132, v134
	v_add_nc_u32_e32 v132, 1, v131
	v_add_nc_u32_e32 v3, v144, v133
	s_clause 0x1
	buffer_load_b128 v[135:138], v2, s[24:27], 0 offen
	buffer_load_b128 v[139:142], v1, s[24:27], 0 offen
	v_mov_b32_e32 v17, v9
	s_waitcnt lgkmcnt(0)
	s_ashr_i32 s4, s8, 31
	v_add_nc_u32_e32 v2, s9, v3
	v_lshlrev_b32_e32 v3, 1, v3
	s_lshl_b32 s18, s10, 1
	s_lshr_b32 s4, s4, 30
	s_delay_alu instid0(VALU_DEP_2)
	v_dual_mov_b32 v26, v9 :: v_dual_lshlrev_b32 v1, 1, v2
	v_add_nc_u32_e32 v2, s9, v2
	s_clause 0x1
	buffer_load_b128 v[160:163], v3, s[16:19], 0 offen
	buffer_load_b128 v[164:167], v1, s[16:19], 0 offen
	v_mov_b32_e32 v3, v9
	v_lshlrev_b32_e32 v1, 1, v2
	v_add_lshl_u32 v2, v2, s9, 1
	s_clause 0x1
	buffer_load_b128 v[168:171], v1, s[16:19], 0 offen
	buffer_load_b128 v[172:175], v2, s[16:19], 0 offen
	s_clause 0x2
	s_load_b32 s30, s[0:1], 0x130
	s_load_b64 s[10:11], s[0:1], 0x24
	s_load_b32 s15, s[0:1], 0x98
	v_mov_b32_e32 v1, v9
	s_add_i32 s8, s8, s4
	v_cmp_gt_i32_e64 s7, s34, v133
	s_ashr_i32 s4, s8, 2
	v_cmp_gt_i32_e32 vcc_lo, s2, v131
	v_cmp_gt_i32_e64 s2, s2, v132
	v_mul_lo_u32 v131, s3, v132
	v_dual_mov_b32 v19, v9 :: v_dual_add_nc_u32 v132, 3, v130
	v_dual_mov_b32 v24, v9 :: v_dual_add_nc_u32 v153, v134, v153
	v_add_nc_u32_e32 v134, 1, v130
	v_cmp_gt_i32_e64 s3, s36, v130
	v_lshl_add_u32 v154, v129, 1, 64
	v_mul_lo_u32 v129, s9, v132
	v_dual_mov_b32 v5, v9 :: v_dual_add_nc_u32 v152, v152, v143
	v_mul_lo_u32 v143, s9, v134
	s_add_i32 s4, s4, -1
	s_waitcnt lgkmcnt(0)
	v_cmp_gt_i32_e64 s8, s15, v133
	v_add_nc_u32_e32 v133, 2, v130
	s_max_i32 s35, s4, 1
	v_cmp_gt_i32_e64 s4, s36, v134
	v_cmp_gt_i32_e64 s6, s36, v132
	v_lshl_add_u32 v155, v131, 1, 64
	v_mul_lo_u32 v130, s9, v133
	s_and_b32 s9, s8, vcc_lo
	v_cmp_gt_i32_e64 s5, s36, v133
	v_lshl_add_u32 v157, v129, 1, 64
	s_and_b32 s8, s8, s2
	v_lshl_add_u32 v159, v143, 1, 64
	v_mov_b32_e32 v2, v9
	v_lshl_add_u32 v156, v144, 1, 64
	v_lshl_add_u32 v158, v130, 1, 64
	s_waitcnt vmcnt(5)
	v_cndmask_b32_e64 v132, 0, v138, s9
	v_cndmask_b32_e64 v131, 0, v137, s9
	;; [unrolled: 1-line block ×4, first 2 shown]
	s_and_b32 s9, s7, s3
	s_waitcnt vmcnt(4)
	v_cndmask_b32_e64 v136, 0, v142, s8
	v_cndmask_b32_e64 v135, 0, v141, s8
	;; [unrolled: 1-line block ×4, first 2 shown]
	s_waitcnt vmcnt(3)
	v_cndmask_b32_e64 v143, 0, v163, s9
	v_cndmask_b32_e64 v142, 0, v162, s9
	;; [unrolled: 1-line block ×4, first 2 shown]
	s_and_b32 s9, s7, s4
	s_waitcnt vmcnt(2)
	v_cndmask_b32_e64 v163, 0, v167, s9
	v_cndmask_b32_e64 v162, 0, v166, s9
	;; [unrolled: 1-line block ×4, first 2 shown]
	s_and_b32 s9, s7, s5
	s_and_b32 s7, s7, s6
	s_waitcnt vmcnt(1)
	v_cndmask_b32_e64 v167, 0, v171, s9
	v_cndmask_b32_e64 v166, 0, v170, s9
	;; [unrolled: 1-line block ×4, first 2 shown]
	s_waitcnt vmcnt(0)
	v_cndmask_b32_e64 v171, 0, v175, s7
	v_cndmask_b32_e64 v170, 0, v174, s7
	;; [unrolled: 1-line block ×4, first 2 shown]
	ds_store_b128 v176, v[140:143]
	ds_store_b128 v176, v[160:163] offset:16
	ds_store_b128 v176, v[164:167] offset:32
	;; [unrolled: 1-line block ×5, first 2 shown]
.LBB3_1:                                ; =>This Inner Loop Header: Depth=1
	v_add_nc_u32_e32 v129, v150, v156
	v_add_nc_u32_e32 v130, v150, v159
	;; [unrolled: 1-line block ×4, first 2 shown]
	v_cmp_gt_i32_e64 s7, s34, v151
	s_clause 0x3
	buffer_load_b128 v[141:144], v129, s[16:19], 0 offen
	buffer_load_b128 v[137:140], v130, s[16:19], 0 offen
	;; [unrolled: 1-line block ×4, first 2 shown]
	s_waitcnt vmcnt(0) lgkmcnt(0)
	s_barrier
	ds_load_b128 v[164:167], v149 offset:18496
	ds_load_b128 v[160:163], v149 offset:16432
	;; [unrolled: 1-line block ×3, first 2 shown]
	ds_load_b128 v[168:171], v148
	ds_load_b128 v[176:179], v149 offset:17456
	ds_load_b128 v[180:183], v149 offset:19520
	s_and_b32 s8, s3, s7
	v_add_nc_u32_e32 v156, 64, v156
	v_add_nc_u32_e32 v157, 64, v157
	;; [unrolled: 1-line block ×4, first 2 shown]
	s_add_i32 s35, s35, -1
	s_waitcnt lgkmcnt(2)
	v_wmma_f32_16x16x16_f16 v[121:128], v[168:175], v[160:167], v[121:128]
	s_waitcnt lgkmcnt(0)
	v_wmma_f32_16x16x16_f16 v[113:120], v[168:175], v[176:183], v[113:120]
	ds_load_b128 v[168:171], v148 offset:512
	ds_load_b128 v[172:175], v148 offset:4624
	s_waitcnt lgkmcnt(0)
	v_wmma_f32_16x16x16_f16 v[97:104], v[168:175], v[160:167], v[97:104]
	v_wmma_f32_16x16x16_f16 v[105:112], v[168:175], v[176:183], v[105:112]
	ds_load_b128 v[172:175], v148 offset:5136
	ds_load_b128 v[168:171], v148 offset:1024
	s_waitcnt lgkmcnt(0)
	v_wmma_f32_16x16x16_f16 v[89:96], v[168:175], v[160:167], v[89:96]
	;; [unrolled: 5-line block ×7, first 2 shown]
	v_wmma_f32_16x16x16_f16 v[9:16], v[168:175], v[176:183], v[9:16]
	ds_load_b128 v[164:167], v149 offset:22624
	ds_load_b128 v[160:163], v149 offset:20560
	ds_load_b128 v[172:175], v148 offset:12336
	ds_load_b128 v[168:171], v148 offset:8224
	ds_load_b128 v[176:179], v149 offset:21584
	ds_load_b128 v[180:183], v149 offset:23648
	s_waitcnt lgkmcnt(2)
	v_wmma_f32_16x16x16_f16 v[121:128], v[168:175], v[160:167], v[121:128]
	s_waitcnt lgkmcnt(0)
	v_wmma_f32_16x16x16_f16 v[113:120], v[168:175], v[176:183], v[113:120]
	ds_load_b128 v[168:171], v148 offset:8736
	ds_load_b128 v[172:175], v148 offset:12848
	s_waitcnt lgkmcnt(0)
	v_wmma_f32_16x16x16_f16 v[97:104], v[168:175], v[160:167], v[97:104]
	v_wmma_f32_16x16x16_f16 v[105:112], v[168:175], v[176:183], v[105:112]
	ds_load_b128 v[172:175], v148 offset:13360
	ds_load_b128 v[168:171], v148 offset:9248
	s_waitcnt lgkmcnt(0)
	v_wmma_f32_16x16x16_f16 v[89:96], v[168:175], v[160:167], v[89:96]
	;; [unrolled: 5-line block ×5, first 2 shown]
	v_wmma_f32_16x16x16_f16 v[41:48], v[168:175], v[176:183], v[41:48]
	ds_load_b128 v[172:175], v148 offset:15408
	ds_load_b128 v[168:171], v148 offset:11296
	v_cndmask_b32_e64 v144, 0, v144, s8
	v_cndmask_b32_e64 v143, 0, v143, s8
	;; [unrolled: 1-line block ×4, first 2 shown]
	s_and_b32 s8, s4, s7
	s_delay_alu instid0(SALU_CYCLE_1)
	v_cndmask_b32_e64 v140, 0, v140, s8
	v_cndmask_b32_e64 v139, 0, v139, s8
	;; [unrolled: 1-line block ×4, first 2 shown]
	s_and_b32 s8, s5, s7
	s_and_b32 s7, s6, s7
	s_waitcnt lgkmcnt(0)
	v_wmma_f32_16x16x16_f16 v[25:32], v[168:175], v[160:167], v[25:32]
	v_wmma_f32_16x16x16_f16 v[17:24], v[168:175], v[176:183], v[17:24]
	ds_load_b128 v[168:171], v148 offset:11808
	ds_load_b128 v[172:175], v148 offset:15920
	v_cndmask_b32_e64 v132, 0, v132, s7
	v_cndmask_b32_e64 v131, 0, v131, s7
	v_cndmask_b32_e64 v130, 0, v130, s7
	v_cndmask_b32_e64 v129, 0, v129, s7
	v_cmp_gt_i32_e64 s7, s15, v151
	v_cndmask_b32_e64 v136, 0, v136, s8
	v_cndmask_b32_e64 v135, 0, v135, s8
	;; [unrolled: 1-line block ×4, first 2 shown]
	s_and_b32 s8, vcc_lo, s7
	v_add_nc_u32_e32 v151, 32, v151
	s_and_b32 s7, s2, s7
	s_cmp_lg_u32 s35, 0
	s_waitcnt lgkmcnt(0)
	v_wmma_f32_16x16x16_f16 v[1:8], v[168:175], v[160:167], v[1:8]
	v_add_nc_u32_e32 v160, v150, v154
	v_add_nc_u32_e32 v164, v150, v155
	v_wmma_f32_16x16x16_f16 v[9:16], v[168:175], v[176:183], v[9:16]
	v_add_nc_u32_e32 v154, 64, v154
	v_add_nc_u32_e32 v155, 64, v155
	s_clause 0x1
	buffer_load_b128 v[160:163], v160, s[24:27], 0 offen
	buffer_load_b128 v[164:167], v164, s[24:27], 0 offen
	s_waitcnt vmcnt(0) lgkmcnt(0)
	s_barrier
	ds_store_b128 v152, v[141:144]
	ds_store_b128 v152, v[137:140] offset:16
	v_cndmask_b32_e64 v163, 0, v163, s8
	v_cndmask_b32_e64 v162, 0, v162, s8
	v_cndmask_b32_e64 v161, 0, v161, s8
	v_cndmask_b32_e64 v160, 0, v160, s8
	v_cndmask_b32_e64 v167, 0, v167, s7
	v_cndmask_b32_e64 v166, 0, v166, s7
	v_cndmask_b32_e64 v165, 0, v165, s7
	v_cndmask_b32_e64 v164, 0, v164, s7
	ds_store_b128 v152, v[133:136] offset:32
	ds_store_b128 v152, v[129:132] offset:48
	;; [unrolled: 1-line block ×4, first 2 shown]
	s_cbranch_scc1 .LBB3_1
; %bb.2:
	s_waitcnt lgkmcnt(0)
	s_barrier
	ds_load_b128 v[129:132], v148
	ds_load_b128 v[133:136], v148 offset:4112
	ds_load_b128 v[137:140], v148 offset:8224
	ds_load_b128 v[141:144], v148 offset:12336
	ds_load_b128 v[150:153], v149 offset:16432
	ds_load_b128 v[154:157], v149 offset:18496
	ds_load_b128 v[158:161], v149 offset:20560
	ds_load_b128 v[162:165], v149 offset:22624
	ds_load_b128 v[166:169], v149 offset:17456
	ds_load_b128 v[170:173], v149 offset:19520
	ds_load_b128 v[174:177], v149 offset:21584
	ds_load_b128 v[178:181], v149 offset:23648
	s_load_b64 s[16:17], s[0:1], 0x10
	s_lshl_b32 s18, s14, 1
	s_mov_b32 s19, 0x31004000
	s_lshl_b32 s14, s20, 1
	s_mov_b32 s15, s19
	s_lshl_b32 s20, s28, 5
	s_waitcnt lgkmcnt(0)
	v_wmma_f32_16x16x16_f16 v[121:128], v[129:136], v[150:157], v[121:128]
	v_wmma_f32_16x16x16_f16 v[113:120], v[129:136], v[166:173], v[113:120]
	s_delay_alu instid0(VALU_DEP_2) | instskip(NEXT) | instid1(VALU_DEP_2)
	v_wmma_f32_16x16x16_f16 v[121:128], v[137:144], v[158:165], v[121:128]
	v_wmma_f32_16x16x16_f16 v[113:120], v[137:144], v[174:181], v[113:120]
	ds_load_b128 v[129:132], v148 offset:512
	ds_load_b128 v[133:136], v148 offset:4624
	ds_load_b128 v[137:140], v148 offset:8736
	ds_load_b128 v[141:144], v148 offset:12848
	s_waitcnt lgkmcnt(2)
	v_wmma_f32_16x16x16_f16 v[97:104], v[129:136], v[150:157], v[97:104]
	v_wmma_f32_16x16x16_f16 v[105:112], v[129:136], v[166:173], v[105:112]
	s_waitcnt lgkmcnt(0)
	s_delay_alu instid0(VALU_DEP_2) | instskip(NEXT) | instid1(VALU_DEP_2)
	v_wmma_f32_16x16x16_f16 v[97:104], v[137:144], v[158:165], v[97:104]
	v_wmma_f32_16x16x16_f16 v[105:112], v[137:144], v[174:181], v[105:112]
	ds_load_b128 v[129:132], v148 offset:1024
	ds_load_b128 v[133:136], v148 offset:5136
	ds_load_b128 v[137:140], v148 offset:9248
	ds_load_b128 v[141:144], v148 offset:13360
	s_waitcnt lgkmcnt(2)
	v_wmma_f32_16x16x16_f16 v[89:96], v[129:136], v[150:157], v[89:96]
	v_wmma_f32_16x16x16_f16 v[81:88], v[129:136], v[166:173], v[81:88]
	s_waitcnt lgkmcnt(0)
	;; [unrolled: 11-line block ×6, first 2 shown]
	s_delay_alu instid0(VALU_DEP_2) | instskip(NEXT) | instid1(VALU_DEP_2)
	v_wmma_f32_16x16x16_f16 v[25:32], v[137:144], v[158:165], v[25:32]
	v_wmma_f32_16x16x16_f16 v[17:24], v[137:144], v[174:181], v[17:24]
	ds_load_b128 v[129:132], v148 offset:3584
	ds_load_b128 v[133:136], v148 offset:7696
	;; [unrolled: 1-line block ×4, first 2 shown]
	s_waitcnt lgkmcnt(0)
	s_barrier
	v_wmma_f32_16x16x16_f16 v[1:8], v[129:136], v[150:157], v[1:8]
	v_wmma_f32_16x16x16_f16 v[9:16], v[129:136], v[166:173], v[9:16]
	v_lshlrev_b32_e32 v130, 5, v0
	v_lshrrev_b32_e32 v0, 3, v0
	v_and_b32_e32 v135, 56, v146
	v_wmma_f32_16x16x16_f16 v[1:8], v[137:144], v[158:165], v[1:8]
	v_wmma_f32_16x16x16_f16 v[9:16], v[137:144], v[174:181], v[9:16]
	v_and_b32_e32 v130, 0x200, v130
	v_lshl_or_b32 v132, s33, 8, v0
	v_or_b32_e32 v133, s31, v135
	s_delay_alu instid0(VALU_DEP_3) | instskip(NEXT) | instid1(VALU_DEP_3)
	v_and_or_b32 v130, v145, 48, v130
	v_cmp_gt_i32_e64 s4, s22, v132
	s_delay_alu instid0(VALU_DEP_3) | instskip(SKIP_1) | instid1(VALU_DEP_2)
	v_cmp_gt_i32_e64 s1, s29, v133
	v_cmp_gt_i32_e64 s7, s21, v132
	s_and_b32 vcc_lo, s1, s4
	v_and_b32_e32 v129, 0x400, v146
	s_delay_alu instid0(VALU_DEP_1) | instskip(NEXT) | instid1(VALU_DEP_1)
	v_or3_b32 v134, v130, v129, v147
	v_mad_u64_u32 v[129:130], null, v132, s23, v[133:134]
	v_mad_u64_u32 v[130:131], null, v132, s28, v[133:134]
	v_lshlrev_b32_e32 v131, 2, v134
	ds_store_2addr_stride64_b32 v131, v121, v122 offset1:1
	ds_store_2addr_stride64_b32 v131, v123, v124 offset0:2 offset1:3
	ds_store_2addr_stride64_b32 v131, v125, v126 offset0:4 offset1:5
	;; [unrolled: 1-line block ×3, first 2 shown]
	v_lshlrev_b32_e32 v127, 1, v129
	s_waitcnt lgkmcnt(0)
	s_barrier
	v_or_b32_e32 v134, 4, v133
	s_lshl_b32 s23, s23, 5
	buffer_load_b64 v[125:126], v127, s[16:19], 0 offen
	v_lshlrev_b32_e32 v121, 2, v135
	v_cmp_gt_i32_e64 s2, s29, v134
	s_waitcnt vmcnt(0)
	v_cndmask_b32_e32 v128, 0, v126, vcc_lo
	s_delay_alu instid0(VALU_DEP_3)
	v_lshl_or_b32 v0, v0, 8, v121
	v_cndmask_b32_e32 v126, 0, v125, vcc_lo
	v_cmp_gt_i32_e32 vcc_lo, s30, v133
	ds_load_b128 v[121:124], v0
	v_cvt_f32_f16_e32 v125, v126
	s_and_b32 s0, vcc_lo, s7
	s_delay_alu instid0(VALU_DEP_1) | instskip(SKIP_1) | instid1(VALU_DEP_1)
	v_mul_f32_e32 v125, s11, v125
	s_waitcnt lgkmcnt(0)
	v_fma_mixlo_f16 v125, s10, v121, v125
	v_lshrrev_b32_e32 v121, 16, v126
	v_cvt_f32_f16_e64 v126, v128
	s_delay_alu instid0(VALU_DEP_2) | instskip(NEXT) | instid1(VALU_DEP_1)
	v_cvt_f32_f16_e32 v121, v121
	v_dual_mul_f32 v126, s11, v126 :: v_dual_mul_f32 v121, s11, v121
	s_delay_alu instid0(VALU_DEP_1) | instskip(SKIP_2) | instid1(VALU_DEP_4)
	v_fma_mixlo_f16 v126, s10, v123, v126
	v_lshrrev_b32_e32 v123, 16, v128
	v_lshlrev_b32_e32 v128, 1, v130
	v_fma_mixhi_f16 v125, s10, v122, v121
	v_cndmask_b32_e64 v121, 0x80000000, 0, s0
	s_delay_alu instid0(VALU_DEP_4) | instskip(SKIP_1) | instid1(VALU_DEP_2)
	v_cvt_f32_f16_e32 v123, v123
	s_and_b32 s0, s4, s2
	v_add_nc_u32_e32 v121, v121, v128
	s_delay_alu instid0(VALU_DEP_2) | instskip(NEXT) | instid1(VALU_DEP_1)
	v_mul_f32_e32 v123, s11, v123
	v_fma_mixhi_f16 v126, s10, v124, v123
	buffer_store_b64 v[125:126], v121, s[12:15], 0 offen
	buffer_load_b64 v[125:126], v127, s[16:19], 0 offen offset:8
	ds_load_b128 v[121:124], v0 offset:16
	s_waitcnt vmcnt(0)
	v_cndmask_b32_e64 v135, 0, v126, s0
	v_cndmask_b32_e64 v126, 0, v125, s0
	v_cmp_gt_i32_e64 s0, s30, v134
	s_delay_alu instid0(VALU_DEP_2) | instskip(NEXT) | instid1(VALU_DEP_2)
	v_cvt_f32_f16_e32 v125, v126
	s_and_b32 s3, s7, s0
	s_delay_alu instid0(VALU_DEP_1) | instskip(SKIP_1) | instid1(VALU_DEP_1)
	v_mul_f32_e32 v125, s11, v125
	s_waitcnt lgkmcnt(0)
	v_fma_mixlo_f16 v125, s10, v121, v125
	v_lshrrev_b32_e32 v121, 16, v126
	v_cvt_f32_f16_e64 v126, v135
	s_delay_alu instid0(VALU_DEP_2) | instskip(NEXT) | instid1(VALU_DEP_1)
	v_cvt_f32_f16_e32 v121, v121
	v_dual_mul_f32 v126, s11, v126 :: v_dual_mul_f32 v121, s11, v121
	s_delay_alu instid0(VALU_DEP_1) | instskip(SKIP_1) | instid1(VALU_DEP_3)
	v_fma_mixlo_f16 v126, s10, v123, v126
	v_lshrrev_b32_e32 v123, 16, v135
	v_fma_mixhi_f16 v125, s10, v122, v121
	v_cndmask_b32_e64 v121, 0x80000000, 0, s3
	s_delay_alu instid0(VALU_DEP_3) | instskip(SKIP_1) | instid1(VALU_DEP_3)
	v_cvt_f32_f16_e32 v123, v123
	v_add_nc_u32_e32 v122, 64, v129
	v_add_nc_u32_e32 v121, v128, v121
	s_delay_alu instid0(VALU_DEP_3) | instskip(NEXT) | instid1(VALU_DEP_1)
	v_mul_f32_e32 v123, s11, v123
	v_fma_mixhi_f16 v126, s10, v124, v123
	v_add_nc_u32_e32 v123, 64, v130
	buffer_store_b64 v[125:126], v121, s[12:15], 0 offen offset:8
	s_waitcnt lgkmcnt(0)
	s_waitcnt_vscnt null, 0x0
	s_barrier
	ds_store_2addr_stride64_b32 v131, v113, v114 offset1:1
	ds_store_2addr_stride64_b32 v131, v115, v116 offset0:2 offset1:3
	ds_store_2addr_stride64_b32 v131, v117, v118 offset0:4 offset1:5
	;; [unrolled: 1-line block ×3, first 2 shown]
	v_lshlrev_b32_e32 v117, 1, v122
	s_waitcnt lgkmcnt(0)
	s_barrier
	v_or_b32_e32 v121, 64, v133
	ds_load_b128 v[113:116], v0
	buffer_load_b64 v[117:118], v117, s[16:19], 0 offen
	v_cmp_gt_i32_e64 s6, s29, v121
	s_delay_alu instid0(VALU_DEP_1) | instskip(SKIP_4) | instid1(VALU_DEP_2)
	s_and_b32 s3, s4, s6
	s_waitcnt vmcnt(0)
	v_cndmask_b32_e64 v119, 0, v118, s3
	v_cndmask_b32_e64 v118, 0, v117, s3
	v_cmp_gt_i32_e64 s3, s30, v121
	v_cvt_f32_f16_e32 v117, v118
	s_delay_alu instid0(VALU_DEP_2) | instskip(NEXT) | instid1(VALU_DEP_1)
	s_and_b32 s5, s7, s3
	v_mul_f32_e32 v117, s11, v117
	s_waitcnt lgkmcnt(0)
	s_delay_alu instid0(VALU_DEP_1) | instskip(SKIP_2) | instid1(VALU_DEP_2)
	v_fma_mixlo_f16 v117, s10, v113, v117
	v_lshrrev_b32_e32 v113, 16, v118
	v_cvt_f32_f16_e32 v118, v119
	v_cvt_f32_f16_e32 v113, v113
	s_delay_alu instid0(VALU_DEP_1) | instskip(NEXT) | instid1(VALU_DEP_1)
	v_dual_mul_f32 v118, s11, v118 :: v_dual_mul_f32 v113, s11, v113
	v_fma_mixlo_f16 v118, s10, v115, v118
	v_lshrrev_b32_e32 v115, 16, v119
	v_or_b32_e32 v119, 0x44, v133
	s_delay_alu instid0(VALU_DEP_4) | instskip(SKIP_1) | instid1(VALU_DEP_4)
	v_fma_mixhi_f16 v117, s10, v114, v113
	v_cndmask_b32_e64 v113, 0x80000000, 0, s5
	v_cvt_f32_f16_e32 v115, v115
	s_delay_alu instid0(VALU_DEP_4) | instskip(NEXT) | instid1(VALU_DEP_3)
	v_cmp_gt_i32_e64 s5, s29, v119
	v_lshl_add_u32 v113, v123, 1, v113
	s_delay_alu instid0(VALU_DEP_3) | instskip(NEXT) | instid1(VALU_DEP_3)
	v_mul_f32_e32 v115, s11, v115
	s_and_b32 s4, s4, s5
	s_delay_alu instid0(VALU_DEP_1)
	v_fma_mixhi_f16 v118, s10, v116, v115
	buffer_store_b64 v[117:118], v113, s[12:15], 0 offen
	buffer_load_b64 v[117:118], v127, s[16:19], 0 offen offset:136
	ds_load_b128 v[113:116], v0 offset:16
	s_waitcnt vmcnt(0)
	v_cndmask_b32_e64 v120, 0, v118, s4
	v_cndmask_b32_e64 v118, 0, v117, s4
	v_cmp_gt_i32_e64 s4, s30, v119
	s_delay_alu instid0(VALU_DEP_2) | instskip(NEXT) | instid1(VALU_DEP_2)
	v_cvt_f32_f16_e32 v117, v118
	s_and_b32 s7, s7, s4
	s_delay_alu instid0(VALU_DEP_1) | instskip(SKIP_1) | instid1(VALU_DEP_1)
	v_mul_f32_e32 v117, s11, v117
	s_waitcnt lgkmcnt(0)
	v_fma_mixlo_f16 v117, s10, v113, v117
	v_lshrrev_b32_e32 v113, 16, v118
	v_cvt_f32_f16_e32 v118, v120
	s_delay_alu instid0(VALU_DEP_2) | instskip(NEXT) | instid1(VALU_DEP_1)
	v_cvt_f32_f16_e32 v113, v113
	v_dual_mul_f32 v118, s11, v118 :: v_dual_mul_f32 v113, s11, v113
	s_delay_alu instid0(VALU_DEP_1) | instskip(SKIP_1) | instid1(VALU_DEP_3)
	v_fma_mixlo_f16 v118, s10, v115, v118
	v_lshrrev_b32_e32 v115, 16, v120
	v_fma_mixhi_f16 v117, s10, v114, v113
	v_cndmask_b32_e64 v113, 0x80000000, 0, s7
	s_delay_alu instid0(VALU_DEP_3) | instskip(NEXT) | instid1(VALU_DEP_2)
	v_cvt_f32_f16_e32 v115, v115
	v_add_nc_u32_e32 v113, v128, v113
	s_delay_alu instid0(VALU_DEP_2) | instskip(NEXT) | instid1(VALU_DEP_1)
	v_mul_f32_e32 v115, s11, v115
	v_fma_mixhi_f16 v118, s10, v116, v115
	buffer_store_b64 v[117:118], v113, s[12:15], 0 offen offset:136
	s_waitcnt lgkmcnt(0)
	s_waitcnt_vscnt null, 0x0
	s_barrier
	ds_store_2addr_stride64_b32 v131, v105, v106 offset1:1
	ds_store_2addr_stride64_b32 v131, v107, v108 offset0:2 offset1:3
	ds_store_2addr_stride64_b32 v131, v109, v110 offset0:4 offset1:5
	;; [unrolled: 1-line block ×3, first 2 shown]
	v_add_lshl_u32 v111, v122, s23, 1
	s_waitcnt lgkmcnt(0)
	s_barrier
	v_or_b32_e32 v113, 32, v132
	ds_load_b128 v[105:108], v0
	buffer_load_b64 v[109:110], v111, s[16:19], 0 offen
	v_cmp_gt_i32_e64 s8, s22, v113
	s_delay_alu instid0(VALU_DEP_1) | instskip(SKIP_4) | instid1(VALU_DEP_2)
	s_and_b32 s7, s6, s8
	s_waitcnt vmcnt(0)
	v_cndmask_b32_e64 v112, 0, v110, s7
	v_cndmask_b32_e64 v110, 0, v109, s7
	v_cmp_gt_i32_e64 s7, s21, v113
	v_cvt_f32_f16_e32 v109, v110
	s_delay_alu instid0(VALU_DEP_2) | instskip(NEXT) | instid1(VALU_DEP_1)
	s_and_b32 s9, s3, s7
	v_mul_f32_e32 v109, s11, v109
	s_waitcnt lgkmcnt(0)
	s_delay_alu instid0(VALU_DEP_1) | instskip(SKIP_2) | instid1(VALU_DEP_2)
	v_fma_mixlo_f16 v109, s10, v105, v109
	v_lshrrev_b32_e32 v105, 16, v110
	v_cvt_f32_f16_e32 v110, v112
	v_cvt_f32_f16_e32 v105, v105
	s_delay_alu instid0(VALU_DEP_1) | instskip(NEXT) | instid1(VALU_DEP_1)
	v_dual_mul_f32 v110, s11, v110 :: v_dual_mul_f32 v105, s11, v105
	v_fma_mixlo_f16 v110, s10, v107, v110
	v_lshrrev_b32_e32 v107, 16, v112
	v_add_lshl_u32 v112, v123, s20, 1
	s_delay_alu instid0(VALU_DEP_4) | instskip(SKIP_1) | instid1(VALU_DEP_4)
	v_fma_mixhi_f16 v109, s10, v106, v105
	v_cndmask_b32_e64 v105, 0x80000000, 0, s9
	v_cvt_f32_f16_e32 v107, v107
	s_and_b32 s9, s5, s8
	s_delay_alu instid0(VALU_DEP_2) | instskip(NEXT) | instid1(VALU_DEP_2)
	v_add_nc_u32_e32 v105, v112, v105
	v_mul_f32_e32 v107, s11, v107
	s_delay_alu instid0(VALU_DEP_1)
	v_fma_mixhi_f16 v110, s10, v108, v107
	buffer_store_b64 v[109:110], v105, s[12:15], 0 offen
	buffer_load_b64 v[109:110], v111, s[16:19], 0 offen offset:8
	ds_load_b128 v[105:108], v0 offset:16
	s_waitcnt vmcnt(0)
	v_cndmask_b32_e64 v111, 0, v110, s9
	v_cndmask_b32_e64 v110, 0, v109, s9
	s_and_b32 s9, s4, s7
	s_delay_alu instid0(VALU_DEP_1) | instskip(NEXT) | instid1(VALU_DEP_1)
	v_cvt_f32_f16_e32 v109, v110
	v_mul_f32_e32 v109, s11, v109
	s_waitcnt lgkmcnt(0)
	s_delay_alu instid0(VALU_DEP_1) | instskip(SKIP_2) | instid1(VALU_DEP_2)
	v_fma_mixlo_f16 v109, s10, v105, v109
	v_lshrrev_b32_e32 v105, 16, v110
	v_cvt_f32_f16_e32 v110, v111
	v_cvt_f32_f16_e32 v105, v105
	s_delay_alu instid0(VALU_DEP_1) | instskip(NEXT) | instid1(VALU_DEP_1)
	v_dual_mul_f32 v110, s11, v110 :: v_dual_mul_f32 v105, s11, v105
	v_fma_mixlo_f16 v110, s10, v107, v110
	v_lshrrev_b32_e32 v107, 16, v111
	s_delay_alu instid0(VALU_DEP_3) | instskip(SKIP_1) | instid1(VALU_DEP_3)
	v_fma_mixhi_f16 v109, s10, v106, v105
	v_cndmask_b32_e64 v105, 0x80000008, 8, s9
	v_cvt_f32_f16_e32 v107, v107
	s_and_b32 s9, s1, s8
	v_add_nc_u32_e32 v106, s20, v130
	s_and_b32 s8, s2, s8
	v_add_nc_u32_e32 v105, v105, v112
	v_mul_f32_e32 v107, s11, v107
	s_delay_alu instid0(VALU_DEP_1)
	v_fma_mixhi_f16 v110, s10, v108, v107
	buffer_store_b64 v[109:110], v105, s[12:15], 0 offen
	v_add_nc_u32_e32 v105, s23, v129
	s_waitcnt lgkmcnt(0)
	s_waitcnt_vscnt null, 0x0
	s_barrier
	ds_store_2addr_stride64_b32 v131, v97, v98 offset1:1
	ds_store_2addr_stride64_b32 v131, v99, v100 offset0:2 offset1:3
	ds_store_2addr_stride64_b32 v131, v101, v102 offset0:4 offset1:5
	;; [unrolled: 1-line block ×3, first 2 shown]
	s_waitcnt lgkmcnt(0)
	v_lshlrev_b32_e32 v103, 1, v105
	s_barrier
	ds_load_b128 v[97:100], v0
	buffer_load_b64 v[101:102], v103, s[16:19], 0 offen
	s_waitcnt vmcnt(0)
	v_cndmask_b32_e64 v104, 0, v102, s9
	v_cndmask_b32_e64 v102, 0, v101, s9
	s_and_b32 s9, vcc_lo, s7
	s_and_b32 s7, s0, s7
	s_delay_alu instid0(VALU_DEP_1) | instskip(NEXT) | instid1(VALU_DEP_1)
	v_cvt_f32_f16_e32 v101, v102
	v_mul_f32_e32 v101, s11, v101
	s_waitcnt lgkmcnt(0)
	s_delay_alu instid0(VALU_DEP_1) | instskip(SKIP_2) | instid1(VALU_DEP_2)
	v_fma_mixlo_f16 v101, s10, v97, v101
	v_lshrrev_b32_e32 v97, 16, v102
	v_cvt_f32_f16_e32 v102, v104
	v_cvt_f32_f16_e32 v97, v97
	s_delay_alu instid0(VALU_DEP_1) | instskip(NEXT) | instid1(VALU_DEP_1)
	v_dual_mul_f32 v102, s11, v102 :: v_dual_mul_f32 v97, s11, v97
	v_fma_mixlo_f16 v102, s10, v99, v102
	v_lshrrev_b32_e32 v99, 16, v104
	v_lshlrev_b32_e32 v104, 1, v106
	s_delay_alu instid0(VALU_DEP_4) | instskip(SKIP_1) | instid1(VALU_DEP_4)
	v_fma_mixhi_f16 v101, s10, v98, v97
	v_cndmask_b32_e64 v97, 0x80000000, 0, s9
	v_cvt_f32_f16_e32 v99, v99
	s_delay_alu instid0(VALU_DEP_2) | instskip(NEXT) | instid1(VALU_DEP_2)
	v_add_nc_u32_e32 v97, v97, v104
	v_mul_f32_e32 v99, s11, v99
	s_delay_alu instid0(VALU_DEP_1)
	v_fma_mixhi_f16 v102, s10, v100, v99
	buffer_store_b64 v[101:102], v97, s[12:15], 0 offen
	buffer_load_b64 v[101:102], v103, s[16:19], 0 offen offset:8
	ds_load_b128 v[97:100], v0 offset:16
	s_waitcnt vmcnt(0)
	v_cndmask_b32_e64 v103, 0, v102, s8
	v_cndmask_b32_e64 v102, 0, v101, s8
	s_delay_alu instid0(VALU_DEP_1) | instskip(NEXT) | instid1(VALU_DEP_1)
	v_cvt_f32_f16_e32 v101, v102
	v_mul_f32_e32 v101, s11, v101
	s_waitcnt lgkmcnt(0)
	s_delay_alu instid0(VALU_DEP_1) | instskip(SKIP_2) | instid1(VALU_DEP_2)
	v_fma_mixlo_f16 v101, s10, v97, v101
	v_lshrrev_b32_e32 v97, 16, v102
	v_cvt_f32_f16_e32 v102, v103
	v_cvt_f32_f16_e32 v97, v97
	s_delay_alu instid0(VALU_DEP_1) | instskip(NEXT) | instid1(VALU_DEP_1)
	v_dual_mul_f32 v102, s11, v102 :: v_dual_mul_f32 v97, s11, v97
	v_fma_mixlo_f16 v102, s10, v99, v102
	v_lshrrev_b32_e32 v99, 16, v103
	s_delay_alu instid0(VALU_DEP_3) | instskip(SKIP_1) | instid1(VALU_DEP_3)
	v_fma_mixhi_f16 v101, s10, v98, v97
	v_cndmask_b32_e64 v97, 0x80000000, 0, s7
	v_cvt_f32_f16_e32 v99, v99
	v_add_nc_u32_e32 v98, s20, v106
	s_delay_alu instid0(VALU_DEP_3) | instskip(NEXT) | instid1(VALU_DEP_3)
	v_add_nc_u32_e32 v97, v104, v97
	v_mul_f32_e32 v99, s11, v99
	s_delay_alu instid0(VALU_DEP_1)
	v_fma_mixhi_f16 v102, s10, v100, v99
	v_or_b32_e32 v99, 64, v132
	buffer_store_b64 v[101:102], v97, s[12:15], 0 offen offset:8
	v_add_nc_u32_e32 v97, s23, v105
	s_waitcnt lgkmcnt(0)
	s_waitcnt_vscnt null, 0x0
	s_barrier
	ds_store_2addr_stride64_b32 v131, v89, v90 offset1:1
	ds_store_2addr_stride64_b32 v131, v91, v92 offset0:2 offset1:3
	ds_store_2addr_stride64_b32 v131, v93, v94 offset0:4 offset1:5
	;; [unrolled: 1-line block ×3, first 2 shown]
	s_waitcnt lgkmcnt(0)
	v_lshlrev_b32_e32 v95, 1, v97
	s_barrier
	v_cmp_gt_i32_e64 s8, s22, v99
	ds_load_b128 v[89:92], v0
	buffer_load_b64 v[93:94], v95, s[16:19], 0 offen
	s_and_b32 s7, s1, s8
	s_waitcnt vmcnt(0)
	v_cndmask_b32_e64 v96, 0, v94, s7
	v_cndmask_b32_e64 v94, 0, v93, s7
	v_cmp_gt_i32_e64 s7, s21, v99
	s_delay_alu instid0(VALU_DEP_2) | instskip(NEXT) | instid1(VALU_DEP_2)
	v_cvt_f32_f16_e32 v93, v94
	s_and_b32 s9, vcc_lo, s7
	s_delay_alu instid0(VALU_DEP_1) | instskip(SKIP_1) | instid1(VALU_DEP_1)
	v_mul_f32_e32 v93, s11, v93
	s_waitcnt lgkmcnt(0)
	v_fma_mixlo_f16 v93, s10, v89, v93
	v_lshrrev_b32_e32 v89, 16, v94
	v_cvt_f32_f16_e32 v94, v96
	s_delay_alu instid0(VALU_DEP_2) | instskip(NEXT) | instid1(VALU_DEP_1)
	v_cvt_f32_f16_e32 v89, v89
	v_dual_mul_f32 v94, s11, v94 :: v_dual_mul_f32 v89, s11, v89
	s_delay_alu instid0(VALU_DEP_1) | instskip(SKIP_2) | instid1(VALU_DEP_4)
	v_fma_mixlo_f16 v94, s10, v91, v94
	v_lshrrev_b32_e32 v91, 16, v96
	v_lshlrev_b32_e32 v96, 1, v98
	v_fma_mixhi_f16 v93, s10, v90, v89
	v_cndmask_b32_e64 v89, 0x80000000, 0, s9
	s_delay_alu instid0(VALU_DEP_4) | instskip(SKIP_1) | instid1(VALU_DEP_2)
	v_cvt_f32_f16_e32 v91, v91
	s_and_b32 s9, s2, s8
	v_add_nc_u32_e32 v89, v96, v89
	s_delay_alu instid0(VALU_DEP_2) | instskip(NEXT) | instid1(VALU_DEP_1)
	v_mul_f32_e32 v91, s11, v91
	v_fma_mixhi_f16 v94, s10, v92, v91
	buffer_store_b64 v[93:94], v89, s[12:15], 0 offen
	buffer_load_b64 v[93:94], v95, s[16:19], 0 offen offset:8
	ds_load_b128 v[89:92], v0 offset:16
	s_waitcnt vmcnt(0)
	v_cndmask_b32_e64 v99, 0, v94, s9
	v_cndmask_b32_e64 v94, 0, v93, s9
	s_and_b32 s9, s0, s7
	s_delay_alu instid0(VALU_DEP_1) | instskip(NEXT) | instid1(VALU_DEP_1)
	v_cvt_f32_f16_e32 v93, v94
	v_mul_f32_e32 v93, s11, v93
	s_waitcnt lgkmcnt(0)
	s_delay_alu instid0(VALU_DEP_1) | instskip(SKIP_2) | instid1(VALU_DEP_2)
	v_fma_mixlo_f16 v93, s10, v89, v93
	v_lshrrev_b32_e32 v89, 16, v94
	v_cvt_f32_f16_e32 v94, v99
	v_cvt_f32_f16_e32 v89, v89
	s_delay_alu instid0(VALU_DEP_1) | instskip(NEXT) | instid1(VALU_DEP_1)
	v_dual_mul_f32 v94, s11, v94 :: v_dual_mul_f32 v89, s11, v89
	v_fma_mixlo_f16 v94, s10, v91, v94
	v_lshrrev_b32_e32 v91, 16, v99
	s_delay_alu instid0(VALU_DEP_3) | instskip(SKIP_1) | instid1(VALU_DEP_3)
	v_fma_mixhi_f16 v93, s10, v90, v89
	v_cndmask_b32_e64 v89, 0x80000008, 8, s9
	v_cvt_f32_f16_e32 v91, v91
	s_and_b32 s9, s6, s8
	v_add_nc_u32_e32 v90, 64, v98
	s_and_b32 s8, s5, s8
	v_add_nc_u32_e32 v89, v89, v96
	v_mul_f32_e32 v91, s11, v91
	s_delay_alu instid0(VALU_DEP_1)
	v_fma_mixhi_f16 v94, s10, v92, v91
	buffer_store_b64 v[93:94], v89, s[12:15], 0 offen
	v_add_nc_u32_e32 v89, 64, v97
	s_waitcnt lgkmcnt(0)
	s_waitcnt_vscnt null, 0x0
	s_barrier
	ds_store_2addr_stride64_b32 v131, v81, v82 offset1:1
	ds_store_2addr_stride64_b32 v131, v83, v84 offset0:2 offset1:3
	ds_store_2addr_stride64_b32 v131, v85, v86 offset0:4 offset1:5
	;; [unrolled: 1-line block ×3, first 2 shown]
	s_waitcnt lgkmcnt(0)
	v_lshlrev_b32_e32 v85, 1, v89
	s_barrier
	ds_load_b128 v[81:84], v0
	buffer_load_b64 v[85:86], v85, s[16:19], 0 offen
	s_waitcnt vmcnt(0)
	v_cndmask_b32_e64 v87, 0, v86, s9
	v_cndmask_b32_e64 v86, 0, v85, s9
	s_and_b32 s9, s3, s7
	s_and_b32 s7, s4, s7
	s_delay_alu instid0(VALU_DEP_1) | instskip(NEXT) | instid1(VALU_DEP_1)
	v_cvt_f32_f16_e32 v85, v86
	v_mul_f32_e32 v85, s11, v85
	s_waitcnt lgkmcnt(0)
	s_delay_alu instid0(VALU_DEP_1) | instskip(SKIP_2) | instid1(VALU_DEP_2)
	v_fma_mixlo_f16 v85, s10, v81, v85
	v_lshrrev_b32_e32 v81, 16, v86
	v_cvt_f32_f16_e32 v86, v87
	v_cvt_f32_f16_e32 v81, v81
	s_delay_alu instid0(VALU_DEP_1) | instskip(NEXT) | instid1(VALU_DEP_1)
	v_dual_mul_f32 v86, s11, v86 :: v_dual_mul_f32 v81, s11, v81
	v_fma_mixlo_f16 v86, s10, v83, v86
	v_lshrrev_b32_e32 v83, 16, v87
	s_delay_alu instid0(VALU_DEP_3) | instskip(SKIP_1) | instid1(VALU_DEP_3)
	v_fma_mixhi_f16 v85, s10, v82, v81
	v_cndmask_b32_e64 v81, 0x80000000, 0, s9
	v_cvt_f32_f16_e32 v83, v83
	s_delay_alu instid0(VALU_DEP_2) | instskip(NEXT) | instid1(VALU_DEP_2)
	v_lshl_add_u32 v81, v90, 1, v81
	v_mul_f32_e32 v83, s11, v83
	s_delay_alu instid0(VALU_DEP_1)
	v_fma_mixhi_f16 v86, s10, v84, v83
	buffer_store_b64 v[85:86], v81, s[12:15], 0 offen
	buffer_load_b64 v[85:86], v95, s[16:19], 0 offen offset:136
	ds_load_b128 v[81:84], v0 offset:16
	s_waitcnt vmcnt(0)
	v_cndmask_b32_e64 v87, 0, v86, s8
	v_cndmask_b32_e64 v86, 0, v85, s8
	s_delay_alu instid0(VALU_DEP_1) | instskip(NEXT) | instid1(VALU_DEP_1)
	v_cvt_f32_f16_e32 v85, v86
	v_mul_f32_e32 v85, s11, v85
	s_waitcnt lgkmcnt(0)
	s_delay_alu instid0(VALU_DEP_1) | instskip(SKIP_2) | instid1(VALU_DEP_2)
	v_fma_mixlo_f16 v85, s10, v81, v85
	v_lshrrev_b32_e32 v81, 16, v86
	v_cvt_f32_f16_e32 v86, v87
	v_cvt_f32_f16_e32 v81, v81
	s_delay_alu instid0(VALU_DEP_1) | instskip(NEXT) | instid1(VALU_DEP_1)
	v_dual_mul_f32 v86, s11, v86 :: v_dual_mul_f32 v81, s11, v81
	v_fma_mixlo_f16 v86, s10, v83, v86
	v_lshrrev_b32_e32 v83, 16, v87
	s_delay_alu instid0(VALU_DEP_3) | instskip(SKIP_1) | instid1(VALU_DEP_3)
	v_fma_mixhi_f16 v85, s10, v82, v81
	v_mov_b32_e32 v81, 0x88
	v_cvt_f32_f16_e32 v83, v83
	s_delay_alu instid0(VALU_DEP_2) | instskip(NEXT) | instid1(VALU_DEP_1)
	v_cndmask_b32_e64 v82, 0x80000088, v81, s7
	v_dual_mul_f32 v83, s11, v83 :: v_dual_add_nc_u32 v82, v82, v96
	s_delay_alu instid0(VALU_DEP_1)
	v_fma_mixhi_f16 v86, s10, v84, v83
	buffer_store_b64 v[85:86], v82, s[12:15], 0 offen
	s_waitcnt lgkmcnt(0)
	s_waitcnt_vscnt null, 0x0
	s_barrier
	ds_store_2addr_stride64_b32 v131, v73, v74 offset1:1
	ds_store_2addr_stride64_b32 v131, v75, v76 offset0:2 offset1:3
	ds_store_2addr_stride64_b32 v131, v77, v78 offset0:4 offset1:5
	;; [unrolled: 1-line block ×3, first 2 shown]
	v_add_lshl_u32 v79, v89, s23, 1
	s_waitcnt lgkmcnt(0)
	s_barrier
	v_or_b32_e32 v82, 0x60, v132
	ds_load_b128 v[73:76], v0
	buffer_load_b64 v[77:78], v79, s[16:19], 0 offen
	v_cmp_gt_i32_e64 s8, s22, v82
	s_delay_alu instid0(VALU_DEP_1) | instskip(SKIP_4) | instid1(VALU_DEP_2)
	s_and_b32 s7, s6, s8
	s_waitcnt vmcnt(0)
	v_cndmask_b32_e64 v80, 0, v78, s7
	v_cndmask_b32_e64 v78, 0, v77, s7
	v_cmp_gt_i32_e64 s7, s21, v82
	v_cvt_f32_f16_e32 v77, v78
	s_delay_alu instid0(VALU_DEP_2) | instskip(NEXT) | instid1(VALU_DEP_1)
	s_and_b32 s9, s3, s7
	v_mul_f32_e32 v77, s11, v77
	s_waitcnt lgkmcnt(0)
	s_delay_alu instid0(VALU_DEP_1) | instskip(SKIP_2) | instid1(VALU_DEP_2)
	v_fma_mixlo_f16 v77, s10, v73, v77
	v_lshrrev_b32_e32 v73, 16, v78
	v_cvt_f32_f16_e32 v78, v80
	v_cvt_f32_f16_e32 v73, v73
	s_delay_alu instid0(VALU_DEP_1) | instskip(NEXT) | instid1(VALU_DEP_1)
	v_dual_mul_f32 v78, s11, v78 :: v_dual_mul_f32 v73, s11, v73
	v_fma_mixlo_f16 v78, s10, v75, v78
	v_lshrrev_b32_e32 v75, 16, v80
	v_add_lshl_u32 v80, v90, s20, 1
	s_delay_alu instid0(VALU_DEP_4) | instskip(SKIP_1) | instid1(VALU_DEP_4)
	v_fma_mixhi_f16 v77, s10, v74, v73
	v_cndmask_b32_e64 v73, 0x80000000, 0, s9
	v_cvt_f32_f16_e32 v75, v75
	s_and_b32 s9, s5, s8
	s_delay_alu instid0(VALU_DEP_2) | instskip(NEXT) | instid1(VALU_DEP_2)
	v_add_nc_u32_e32 v73, v80, v73
	v_mul_f32_e32 v75, s11, v75
	s_delay_alu instid0(VALU_DEP_1)
	v_fma_mixhi_f16 v78, s10, v76, v75
	buffer_store_b64 v[77:78], v73, s[12:15], 0 offen
	buffer_load_b64 v[77:78], v79, s[16:19], 0 offen offset:8
	ds_load_b128 v[73:76], v0 offset:16
	s_waitcnt vmcnt(0)
	v_cndmask_b32_e64 v79, 0, v78, s9
	v_cndmask_b32_e64 v78, 0, v77, s9
	s_and_b32 s9, s4, s7
	s_delay_alu instid0(VALU_DEP_1) | instskip(NEXT) | instid1(VALU_DEP_1)
	v_cvt_f32_f16_e32 v77, v78
	v_mul_f32_e32 v77, s11, v77
	s_waitcnt lgkmcnt(0)
	s_delay_alu instid0(VALU_DEP_1) | instskip(SKIP_2) | instid1(VALU_DEP_2)
	v_fma_mixlo_f16 v77, s10, v73, v77
	v_lshrrev_b32_e32 v73, 16, v78
	v_cvt_f32_f16_e32 v78, v79
	v_cvt_f32_f16_e32 v73, v73
	s_delay_alu instid0(VALU_DEP_1) | instskip(NEXT) | instid1(VALU_DEP_1)
	v_dual_mul_f32 v78, s11, v78 :: v_dual_mul_f32 v73, s11, v73
	v_fma_mixlo_f16 v78, s10, v75, v78
	v_lshrrev_b32_e32 v75, 16, v79
	s_delay_alu instid0(VALU_DEP_3) | instskip(SKIP_1) | instid1(VALU_DEP_3)
	v_fma_mixhi_f16 v77, s10, v74, v73
	v_cndmask_b32_e64 v73, 0x80000008, 8, s9
	v_cvt_f32_f16_e32 v75, v75
	s_and_b32 s9, s1, s8
	v_add_nc_u32_e32 v74, s20, v98
	s_and_b32 s8, s2, s8
	v_add_nc_u32_e32 v73, v73, v80
	v_mul_f32_e32 v75, s11, v75
	s_delay_alu instid0(VALU_DEP_1)
	v_fma_mixhi_f16 v78, s10, v76, v75
	buffer_store_b64 v[77:78], v73, s[12:15], 0 offen
	v_add_nc_u32_e32 v73, s23, v97
	s_waitcnt lgkmcnt(0)
	s_waitcnt_vscnt null, 0x0
	s_barrier
	ds_store_2addr_stride64_b32 v131, v65, v66 offset1:1
	ds_store_2addr_stride64_b32 v131, v67, v68 offset0:2 offset1:3
	ds_store_2addr_stride64_b32 v131, v69, v70 offset0:4 offset1:5
	ds_store_2addr_stride64_b32 v131, v71, v72 offset0:6 offset1:7
	s_waitcnt lgkmcnt(0)
	v_lshlrev_b32_e32 v71, 1, v73
	s_barrier
	ds_load_b128 v[65:68], v0
	buffer_load_b64 v[69:70], v71, s[16:19], 0 offen
	s_waitcnt vmcnt(0)
	v_cndmask_b32_e64 v72, 0, v70, s9
	v_cndmask_b32_e64 v70, 0, v69, s9
	s_and_b32 s9, vcc_lo, s7
	s_and_b32 s7, s0, s7
	s_delay_alu instid0(VALU_DEP_1) | instskip(NEXT) | instid1(VALU_DEP_1)
	v_cvt_f32_f16_e32 v69, v70
	v_mul_f32_e32 v69, s11, v69
	s_waitcnt lgkmcnt(0)
	s_delay_alu instid0(VALU_DEP_1) | instskip(SKIP_2) | instid1(VALU_DEP_2)
	v_fma_mixlo_f16 v69, s10, v65, v69
	v_lshrrev_b32_e32 v65, 16, v70
	v_cvt_f32_f16_e32 v70, v72
	v_cvt_f32_f16_e32 v65, v65
	s_delay_alu instid0(VALU_DEP_1) | instskip(NEXT) | instid1(VALU_DEP_1)
	v_dual_mul_f32 v70, s11, v70 :: v_dual_mul_f32 v65, s11, v65
	v_fma_mixlo_f16 v70, s10, v67, v70
	v_lshrrev_b32_e32 v67, 16, v72
	v_lshlrev_b32_e32 v72, 1, v74
	s_delay_alu instid0(VALU_DEP_4) | instskip(SKIP_1) | instid1(VALU_DEP_4)
	v_fma_mixhi_f16 v69, s10, v66, v65
	v_cndmask_b32_e64 v65, 0x80000000, 0, s9
	v_cvt_f32_f16_e32 v67, v67
	s_delay_alu instid0(VALU_DEP_2) | instskip(NEXT) | instid1(VALU_DEP_2)
	v_add_nc_u32_e32 v65, v72, v65
	v_mul_f32_e32 v67, s11, v67
	s_delay_alu instid0(VALU_DEP_1)
	v_fma_mixhi_f16 v70, s10, v68, v67
	buffer_store_b64 v[69:70], v65, s[12:15], 0 offen
	buffer_load_b64 v[69:70], v71, s[16:19], 0 offen offset:8
	ds_load_b128 v[65:68], v0 offset:16
	s_waitcnt vmcnt(0)
	v_cndmask_b32_e64 v71, 0, v70, s8
	v_cndmask_b32_e64 v70, 0, v69, s8
	s_delay_alu instid0(VALU_DEP_1) | instskip(NEXT) | instid1(VALU_DEP_1)
	v_cvt_f32_f16_e32 v69, v70
	v_mul_f32_e32 v69, s11, v69
	s_waitcnt lgkmcnt(0)
	s_delay_alu instid0(VALU_DEP_1) | instskip(SKIP_2) | instid1(VALU_DEP_2)
	v_fma_mixlo_f16 v69, s10, v65, v69
	v_lshrrev_b32_e32 v65, 16, v70
	v_cvt_f32_f16_e32 v70, v71
	v_cvt_f32_f16_e32 v65, v65
	s_delay_alu instid0(VALU_DEP_1) | instskip(NEXT) | instid1(VALU_DEP_1)
	v_dual_mul_f32 v70, s11, v70 :: v_dual_mul_f32 v65, s11, v65
	v_fma_mixlo_f16 v70, s10, v67, v70
	v_lshrrev_b32_e32 v67, 16, v71
	s_delay_alu instid0(VALU_DEP_3) | instskip(SKIP_1) | instid1(VALU_DEP_3)
	v_fma_mixhi_f16 v69, s10, v66, v65
	v_cndmask_b32_e64 v65, 0x80000008, 8, s7
	v_cvt_f32_f16_e32 v67, v67
	v_add_nc_u32_e32 v66, s20, v74
	s_delay_alu instid0(VALU_DEP_3) | instskip(NEXT) | instid1(VALU_DEP_3)
	v_add_nc_u32_e32 v65, v65, v72
	v_mul_f32_e32 v67, s11, v67
	s_delay_alu instid0(VALU_DEP_1)
	v_fma_mixhi_f16 v70, s10, v68, v67
	v_or_b32_e32 v67, 0x80, v132
	buffer_store_b64 v[69:70], v65, s[12:15], 0 offen
	v_add_nc_u32_e32 v65, s23, v73
	s_waitcnt lgkmcnt(0)
	s_waitcnt_vscnt null, 0x0
	s_barrier
	ds_store_2addr_stride64_b32 v131, v57, v58 offset1:1
	ds_store_2addr_stride64_b32 v131, v59, v60 offset0:2 offset1:3
	ds_store_2addr_stride64_b32 v131, v61, v62 offset0:4 offset1:5
	;; [unrolled: 1-line block ×3, first 2 shown]
	s_waitcnt lgkmcnt(0)
	v_lshlrev_b32_e32 v63, 1, v65
	s_barrier
	v_cmp_gt_i32_e64 s7, s22, v67
	ds_load_b128 v[57:60], v0
	buffer_load_b64 v[61:62], v63, s[16:19], 0 offen
	s_and_b32 s8, s1, s7
	s_waitcnt vmcnt(0)
	v_cndmask_b32_e64 v64, 0, v62, s8
	v_cndmask_b32_e64 v62, 0, v61, s8
	v_cmp_gt_i32_e64 s8, s21, v67
	s_delay_alu instid0(VALU_DEP_2) | instskip(NEXT) | instid1(VALU_DEP_2)
	v_cvt_f32_f16_e32 v61, v62
	s_and_b32 s9, vcc_lo, s8
	s_delay_alu instid0(VALU_DEP_1) | instskip(SKIP_1) | instid1(VALU_DEP_1)
	v_mul_f32_e32 v61, s11, v61
	s_waitcnt lgkmcnt(0)
	v_fma_mixlo_f16 v61, s10, v57, v61
	v_lshrrev_b32_e32 v57, 16, v62
	v_cvt_f32_f16_e32 v62, v64
	s_delay_alu instid0(VALU_DEP_2) | instskip(NEXT) | instid1(VALU_DEP_1)
	v_cvt_f32_f16_e32 v57, v57
	v_dual_mul_f32 v62, s11, v62 :: v_dual_mul_f32 v57, s11, v57
	s_delay_alu instid0(VALU_DEP_1) | instskip(SKIP_2) | instid1(VALU_DEP_4)
	v_fma_mixlo_f16 v62, s10, v59, v62
	v_lshrrev_b32_e32 v59, 16, v64
	v_lshlrev_b32_e32 v64, 1, v66
	v_fma_mixhi_f16 v61, s10, v58, v57
	v_cndmask_b32_e64 v57, 0x80000000, 0, s9
	s_delay_alu instid0(VALU_DEP_4) | instskip(SKIP_1) | instid1(VALU_DEP_2)
	v_cvt_f32_f16_e32 v59, v59
	s_and_b32 s9, s2, s7
	v_add_nc_u32_e32 v57, v64, v57
	s_delay_alu instid0(VALU_DEP_2) | instskip(NEXT) | instid1(VALU_DEP_1)
	v_mul_f32_e32 v59, s11, v59
	v_fma_mixhi_f16 v62, s10, v60, v59
	buffer_store_b64 v[61:62], v57, s[12:15], 0 offen
	buffer_load_b64 v[61:62], v63, s[16:19], 0 offen offset:8
	ds_load_b128 v[57:60], v0 offset:16
	s_waitcnt vmcnt(0)
	v_cndmask_b32_e64 v67, 0, v62, s9
	v_cndmask_b32_e64 v62, 0, v61, s9
	s_and_b32 s9, s0, s8
	s_delay_alu instid0(VALU_DEP_1) | instskip(NEXT) | instid1(VALU_DEP_1)
	v_cvt_f32_f16_e32 v61, v62
	v_mul_f32_e32 v61, s11, v61
	s_waitcnt lgkmcnt(0)
	s_delay_alu instid0(VALU_DEP_1) | instskip(SKIP_2) | instid1(VALU_DEP_2)
	v_fma_mixlo_f16 v61, s10, v57, v61
	v_lshrrev_b32_e32 v57, 16, v62
	v_cvt_f32_f16_e32 v62, v67
	v_cvt_f32_f16_e32 v57, v57
	s_delay_alu instid0(VALU_DEP_1) | instskip(NEXT) | instid1(VALU_DEP_1)
	v_dual_mul_f32 v62, s11, v62 :: v_dual_mul_f32 v57, s11, v57
	v_fma_mixlo_f16 v62, s10, v59, v62
	v_lshrrev_b32_e32 v59, 16, v67
	s_delay_alu instid0(VALU_DEP_3) | instskip(SKIP_1) | instid1(VALU_DEP_3)
	v_fma_mixhi_f16 v61, s10, v58, v57
	v_cndmask_b32_e64 v57, 0x80000008, 8, s9
	v_cvt_f32_f16_e32 v59, v59
	s_and_b32 s9, s6, s7
	v_add_nc_u32_e32 v58, 64, v66
	s_and_b32 s7, s5, s7
	v_add_nc_u32_e32 v57, v57, v64
	v_mul_f32_e32 v59, s11, v59
	s_delay_alu instid0(VALU_DEP_1)
	v_fma_mixhi_f16 v62, s10, v60, v59
	buffer_store_b64 v[61:62], v57, s[12:15], 0 offen
	v_add_nc_u32_e32 v57, 64, v65
	s_waitcnt lgkmcnt(0)
	s_waitcnt_vscnt null, 0x0
	s_barrier
	ds_store_2addr_stride64_b32 v131, v49, v50 offset1:1
	ds_store_2addr_stride64_b32 v131, v51, v52 offset0:2 offset1:3
	ds_store_2addr_stride64_b32 v131, v53, v54 offset0:4 offset1:5
	;; [unrolled: 1-line block ×3, first 2 shown]
	s_waitcnt lgkmcnt(0)
	v_lshlrev_b32_e32 v53, 1, v57
	s_barrier
	ds_load_b128 v[49:52], v0
	buffer_load_b64 v[53:54], v53, s[16:19], 0 offen
	s_waitcnt vmcnt(0)
	v_cndmask_b32_e64 v55, 0, v54, s9
	v_cndmask_b32_e64 v54, 0, v53, s9
	s_and_b32 s9, s3, s8
	s_delay_alu instid0(VALU_DEP_1) | instskip(NEXT) | instid1(VALU_DEP_1)
	v_cvt_f32_f16_e32 v53, v54
	v_mul_f32_e32 v53, s11, v53
	s_waitcnt lgkmcnt(0)
	s_delay_alu instid0(VALU_DEP_1) | instskip(SKIP_2) | instid1(VALU_DEP_2)
	v_fma_mixlo_f16 v53, s10, v49, v53
	v_lshrrev_b32_e32 v49, 16, v54
	v_cvt_f32_f16_e32 v54, v55
	v_cvt_f32_f16_e32 v49, v49
	s_delay_alu instid0(VALU_DEP_1) | instskip(NEXT) | instid1(VALU_DEP_1)
	v_dual_mul_f32 v54, s11, v54 :: v_dual_mul_f32 v49, s11, v49
	v_fma_mixlo_f16 v54, s10, v51, v54
	v_lshrrev_b32_e32 v51, 16, v55
	s_delay_alu instid0(VALU_DEP_3) | instskip(SKIP_1) | instid1(VALU_DEP_3)
	v_fma_mixhi_f16 v53, s10, v50, v49
	v_cndmask_b32_e64 v49, 0x80000000, 0, s9
	v_cvt_f32_f16_e32 v51, v51
	s_delay_alu instid0(VALU_DEP_2) | instskip(NEXT) | instid1(VALU_DEP_2)
	v_lshl_add_u32 v49, v58, 1, v49
	v_mul_f32_e32 v51, s11, v51
	s_delay_alu instid0(VALU_DEP_1)
	v_fma_mixhi_f16 v54, s10, v52, v51
	buffer_store_b64 v[53:54], v49, s[12:15], 0 offen
	buffer_load_b64 v[53:54], v63, s[16:19], 0 offen offset:136
	ds_load_b128 v[49:52], v0 offset:16
	s_waitcnt vmcnt(0)
	v_cndmask_b32_e64 v55, 0, v54, s7
	v_cndmask_b32_e64 v54, 0, v53, s7
	s_and_b32 s7, s4, s8
	s_delay_alu instid0(VALU_DEP_1) | instskip(NEXT) | instid1(VALU_DEP_1)
	v_cvt_f32_f16_e32 v53, v54
	v_mul_f32_e32 v53, s11, v53
	s_waitcnt lgkmcnt(0)
	s_delay_alu instid0(VALU_DEP_1) | instskip(SKIP_2) | instid1(VALU_DEP_2)
	v_fma_mixlo_f16 v53, s10, v49, v53
	v_lshrrev_b32_e32 v49, 16, v54
	v_cvt_f32_f16_e32 v54, v55
	v_cvt_f32_f16_e32 v49, v49
	s_delay_alu instid0(VALU_DEP_1) | instskip(NEXT) | instid1(VALU_DEP_1)
	v_dual_mul_f32 v54, s11, v54 :: v_dual_mul_f32 v49, s11, v49
	v_fma_mixlo_f16 v54, s10, v51, v54
	v_lshrrev_b32_e32 v51, 16, v55
	s_delay_alu instid0(VALU_DEP_3) | instskip(SKIP_1) | instid1(VALU_DEP_3)
	v_fma_mixhi_f16 v53, s10, v50, v49
	v_cndmask_b32_e64 v49, 0x80000088, v81, s7
	v_cvt_f32_f16_e32 v51, v51
	s_delay_alu instid0(VALU_DEP_2) | instskip(NEXT) | instid1(VALU_DEP_2)
	v_add_nc_u32_e32 v49, v49, v64
	v_mul_f32_e32 v51, s11, v51
	s_delay_alu instid0(VALU_DEP_1)
	v_fma_mixhi_f16 v54, s10, v52, v51
	buffer_store_b64 v[53:54], v49, s[12:15], 0 offen
	s_waitcnt lgkmcnt(0)
	s_waitcnt_vscnt null, 0x0
	s_barrier
	ds_store_2addr_stride64_b32 v131, v41, v42 offset1:1
	ds_store_2addr_stride64_b32 v131, v43, v44 offset0:2 offset1:3
	ds_store_2addr_stride64_b32 v131, v45, v46 offset0:4 offset1:5
	;; [unrolled: 1-line block ×3, first 2 shown]
	v_add_lshl_u32 v47, v57, s23, 1
	s_waitcnt lgkmcnt(0)
	s_barrier
	v_or_b32_e32 v49, 0xa0, v132
	ds_load_b128 v[41:44], v0
	buffer_load_b64 v[45:46], v47, s[16:19], 0 offen
	v_cmp_gt_i32_e64 s7, s22, v49
	s_delay_alu instid0(VALU_DEP_1) | instskip(SKIP_4) | instid1(VALU_DEP_2)
	s_and_b32 s8, s6, s7
	s_waitcnt vmcnt(0)
	v_cndmask_b32_e64 v48, 0, v46, s8
	v_cndmask_b32_e64 v46, 0, v45, s8
	v_cmp_gt_i32_e64 s8, s21, v49
	v_cvt_f32_f16_e32 v45, v46
	s_delay_alu instid0(VALU_DEP_2) | instskip(NEXT) | instid1(VALU_DEP_1)
	s_and_b32 s9, s3, s8
	v_mul_f32_e32 v45, s11, v45
	s_waitcnt lgkmcnt(0)
	s_delay_alu instid0(VALU_DEP_1) | instskip(SKIP_2) | instid1(VALU_DEP_2)
	v_fma_mixlo_f16 v45, s10, v41, v45
	v_lshrrev_b32_e32 v41, 16, v46
	v_cvt_f32_f16_e32 v46, v48
	v_cvt_f32_f16_e32 v41, v41
	s_delay_alu instid0(VALU_DEP_1) | instskip(NEXT) | instid1(VALU_DEP_1)
	v_dual_mul_f32 v46, s11, v46 :: v_dual_mul_f32 v41, s11, v41
	v_fma_mixlo_f16 v46, s10, v43, v46
	v_lshrrev_b32_e32 v43, 16, v48
	v_add_lshl_u32 v48, v58, s20, 1
	s_delay_alu instid0(VALU_DEP_4) | instskip(SKIP_1) | instid1(VALU_DEP_4)
	v_fma_mixhi_f16 v45, s10, v42, v41
	v_cndmask_b32_e64 v41, 0x80000000, 0, s9
	v_cvt_f32_f16_e32 v43, v43
	s_and_b32 s9, s5, s7
	s_delay_alu instid0(VALU_DEP_2) | instskip(NEXT) | instid1(VALU_DEP_2)
	v_add_nc_u32_e32 v41, v48, v41
	v_mul_f32_e32 v43, s11, v43
	s_delay_alu instid0(VALU_DEP_1)
	v_fma_mixhi_f16 v46, s10, v44, v43
	buffer_store_b64 v[45:46], v41, s[12:15], 0 offen
	buffer_load_b64 v[45:46], v47, s[16:19], 0 offen offset:8
	ds_load_b128 v[41:44], v0 offset:16
	s_waitcnt vmcnt(0)
	v_cndmask_b32_e64 v47, 0, v46, s9
	v_cndmask_b32_e64 v46, 0, v45, s9
	s_and_b32 s9, s4, s8
	s_delay_alu instid0(VALU_DEP_1) | instskip(NEXT) | instid1(VALU_DEP_1)
	v_cvt_f32_f16_e32 v45, v46
	v_mul_f32_e32 v45, s11, v45
	s_waitcnt lgkmcnt(0)
	s_delay_alu instid0(VALU_DEP_1) | instskip(SKIP_2) | instid1(VALU_DEP_2)
	v_fma_mixlo_f16 v45, s10, v41, v45
	v_lshrrev_b32_e32 v41, 16, v46
	v_cvt_f32_f16_e32 v46, v47
	v_cvt_f32_f16_e32 v41, v41
	s_delay_alu instid0(VALU_DEP_1) | instskip(NEXT) | instid1(VALU_DEP_1)
	v_dual_mul_f32 v46, s11, v46 :: v_dual_mul_f32 v41, s11, v41
	v_fma_mixlo_f16 v46, s10, v43, v46
	v_lshrrev_b32_e32 v43, 16, v47
	s_delay_alu instid0(VALU_DEP_3) | instskip(SKIP_1) | instid1(VALU_DEP_3)
	v_fma_mixhi_f16 v45, s10, v42, v41
	v_cndmask_b32_e64 v41, 0x80000008, 8, s9
	v_cvt_f32_f16_e32 v43, v43
	s_and_b32 s9, s1, s7
	v_add_nc_u32_e32 v42, s20, v66
	s_and_b32 s7, s2, s7
	v_add_nc_u32_e32 v41, v41, v48
	v_mul_f32_e32 v43, s11, v43
	s_delay_alu instid0(VALU_DEP_1)
	v_fma_mixhi_f16 v46, s10, v44, v43
	buffer_store_b64 v[45:46], v41, s[12:15], 0 offen
	v_add_nc_u32_e32 v41, s23, v65
	s_waitcnt lgkmcnt(0)
	s_waitcnt_vscnt null, 0x0
	s_barrier
	ds_store_2addr_stride64_b32 v131, v33, v34 offset1:1
	ds_store_2addr_stride64_b32 v131, v35, v36 offset0:2 offset1:3
	ds_store_2addr_stride64_b32 v131, v37, v38 offset0:4 offset1:5
	;; [unrolled: 1-line block ×3, first 2 shown]
	s_waitcnt lgkmcnt(0)
	v_lshlrev_b32_e32 v39, 1, v41
	s_barrier
	ds_load_b128 v[33:36], v0
	buffer_load_b64 v[37:38], v39, s[16:19], 0 offen
	s_waitcnt vmcnt(0)
	v_cndmask_b32_e64 v40, 0, v38, s9
	v_cndmask_b32_e64 v38, 0, v37, s9
	s_and_b32 s9, vcc_lo, s8
	s_delay_alu instid0(VALU_DEP_1) | instskip(NEXT) | instid1(VALU_DEP_1)
	v_cvt_f32_f16_e32 v37, v38
	v_mul_f32_e32 v37, s11, v37
	s_waitcnt lgkmcnt(0)
	s_delay_alu instid0(VALU_DEP_1) | instskip(SKIP_2) | instid1(VALU_DEP_2)
	v_fma_mixlo_f16 v37, s10, v33, v37
	v_lshrrev_b32_e32 v33, 16, v38
	v_cvt_f32_f16_e32 v38, v40
	v_cvt_f32_f16_e32 v33, v33
	s_delay_alu instid0(VALU_DEP_1) | instskip(NEXT) | instid1(VALU_DEP_1)
	v_dual_mul_f32 v38, s11, v38 :: v_dual_mul_f32 v33, s11, v33
	v_fma_mixlo_f16 v38, s10, v35, v38
	v_lshrrev_b32_e32 v35, 16, v40
	v_lshlrev_b32_e32 v40, 1, v42
	s_delay_alu instid0(VALU_DEP_4) | instskip(SKIP_1) | instid1(VALU_DEP_4)
	v_fma_mixhi_f16 v37, s10, v34, v33
	v_cndmask_b32_e64 v33, 0x80000000, 0, s9
	v_cvt_f32_f16_e32 v35, v35
	s_delay_alu instid0(VALU_DEP_2) | instskip(NEXT) | instid1(VALU_DEP_2)
	v_add_nc_u32_e32 v33, v40, v33
	v_mul_f32_e32 v35, s11, v35
	s_delay_alu instid0(VALU_DEP_1)
	v_fma_mixhi_f16 v38, s10, v36, v35
	buffer_store_b64 v[37:38], v33, s[12:15], 0 offen
	buffer_load_b64 v[37:38], v39, s[16:19], 0 offen offset:8
	ds_load_b128 v[33:36], v0 offset:16
	s_waitcnt vmcnt(0)
	v_cndmask_b32_e64 v39, 0, v38, s7
	v_cndmask_b32_e64 v38, 0, v37, s7
	s_and_b32 s7, s0, s8
	s_delay_alu instid0(VALU_DEP_1) | instskip(NEXT) | instid1(VALU_DEP_1)
	v_cvt_f32_f16_e32 v37, v38
	v_mul_f32_e32 v37, s11, v37
	s_waitcnt lgkmcnt(0)
	s_delay_alu instid0(VALU_DEP_1) | instskip(SKIP_2) | instid1(VALU_DEP_2)
	v_fma_mixlo_f16 v37, s10, v33, v37
	v_lshrrev_b32_e32 v33, 16, v38
	v_cvt_f32_f16_e32 v38, v39
	v_cvt_f32_f16_e32 v33, v33
	s_delay_alu instid0(VALU_DEP_1) | instskip(NEXT) | instid1(VALU_DEP_1)
	v_dual_mul_f32 v38, s11, v38 :: v_dual_mul_f32 v33, s11, v33
	v_fma_mixlo_f16 v38, s10, v35, v38
	v_lshrrev_b32_e32 v35, 16, v39
	s_delay_alu instid0(VALU_DEP_3) | instskip(SKIP_1) | instid1(VALU_DEP_3)
	v_fma_mixhi_f16 v37, s10, v34, v33
	v_cndmask_b32_e64 v33, 0x80000008, 8, s7
	v_cvt_f32_f16_e32 v35, v35
	v_add_nc_u32_e32 v34, s23, v41
	s_delay_alu instid0(VALU_DEP_3) | instskip(NEXT) | instid1(VALU_DEP_3)
	v_add_nc_u32_e32 v33, v33, v40
	v_mul_f32_e32 v35, s11, v35
	s_delay_alu instid0(VALU_DEP_1)
	v_fma_mixhi_f16 v38, s10, v36, v35
	v_or_b32_e32 v35, 0xc0, v132
	buffer_store_b64 v[37:38], v33, s[12:15], 0 offen
	s_waitcnt lgkmcnt(0)
	s_waitcnt_vscnt null, 0x0
	s_barrier
	ds_store_2addr_stride64_b32 v131, v25, v26 offset1:1
	ds_store_2addr_stride64_b32 v131, v27, v28 offset0:2 offset1:3
	ds_store_2addr_stride64_b32 v131, v29, v30 offset0:4 offset1:5
	;; [unrolled: 1-line block ×3, first 2 shown]
	v_lshlrev_b32_e32 v31, 1, v34
	s_waitcnt lgkmcnt(0)
	s_barrier
	v_cmp_gt_i32_e64 s7, s22, v35
	ds_load_b128 v[25:28], v0
	buffer_load_b64 v[29:30], v31, s[16:19], 0 offen
	v_add_nc_u32_e32 v33, s20, v42
	s_and_b32 s8, s1, s7
	s_waitcnt vmcnt(0)
	v_cndmask_b32_e64 v32, 0, v30, s8
	v_cndmask_b32_e64 v30, 0, v29, s8
	v_cmp_gt_i32_e64 s8, s21, v35
	s_delay_alu instid0(VALU_DEP_2) | instskip(NEXT) | instid1(VALU_DEP_2)
	v_cvt_f32_f16_e32 v29, v30
	s_and_b32 s9, vcc_lo, s8
	s_delay_alu instid0(VALU_DEP_1) | instskip(SKIP_1) | instid1(VALU_DEP_1)
	v_mul_f32_e32 v29, s11, v29
	s_waitcnt lgkmcnt(0)
	v_fma_mixlo_f16 v29, s10, v25, v29
	v_lshrrev_b32_e32 v25, 16, v30
	v_cvt_f32_f16_e32 v30, v32
	s_delay_alu instid0(VALU_DEP_2) | instskip(NEXT) | instid1(VALU_DEP_1)
	v_cvt_f32_f16_e32 v25, v25
	v_dual_mul_f32 v30, s11, v30 :: v_dual_mul_f32 v25, s11, v25
	s_delay_alu instid0(VALU_DEP_1) | instskip(SKIP_2) | instid1(VALU_DEP_4)
	v_fma_mixlo_f16 v30, s10, v27, v30
	v_lshrrev_b32_e32 v27, 16, v32
	v_lshlrev_b32_e32 v32, 1, v33
	v_fma_mixhi_f16 v29, s10, v26, v25
	v_cndmask_b32_e64 v25, 0x80000000, 0, s9
	s_delay_alu instid0(VALU_DEP_4) | instskip(SKIP_1) | instid1(VALU_DEP_2)
	v_cvt_f32_f16_e32 v27, v27
	s_and_b32 s9, s2, s7
	v_add_nc_u32_e32 v25, v32, v25
	s_delay_alu instid0(VALU_DEP_2) | instskip(NEXT) | instid1(VALU_DEP_1)
	v_mul_f32_e32 v27, s11, v27
	v_fma_mixhi_f16 v30, s10, v28, v27
	buffer_store_b64 v[29:30], v25, s[12:15], 0 offen
	buffer_load_b64 v[29:30], v31, s[16:19], 0 offen offset:8
	ds_load_b128 v[25:28], v0 offset:16
	s_waitcnt vmcnt(0)
	v_cndmask_b32_e64 v35, 0, v30, s9
	v_cndmask_b32_e64 v30, 0, v29, s9
	s_and_b32 s9, s0, s8
	s_delay_alu instid0(VALU_DEP_1) | instskip(NEXT) | instid1(VALU_DEP_1)
	v_cvt_f32_f16_e32 v29, v30
	v_mul_f32_e32 v29, s11, v29
	s_waitcnt lgkmcnt(0)
	s_delay_alu instid0(VALU_DEP_1) | instskip(SKIP_2) | instid1(VALU_DEP_2)
	v_fma_mixlo_f16 v29, s10, v25, v29
	v_lshrrev_b32_e32 v25, 16, v30
	v_cvt_f32_f16_e32 v30, v35
	v_cvt_f32_f16_e32 v25, v25
	s_delay_alu instid0(VALU_DEP_1) | instskip(NEXT) | instid1(VALU_DEP_1)
	v_dual_mul_f32 v30, s11, v30 :: v_dual_mul_f32 v25, s11, v25
	v_fma_mixlo_f16 v30, s10, v27, v30
	v_lshrrev_b32_e32 v27, 16, v35
	s_delay_alu instid0(VALU_DEP_3) | instskip(SKIP_1) | instid1(VALU_DEP_3)
	v_fma_mixhi_f16 v29, s10, v26, v25
	v_add_nc_u32_e32 v26, 64, v33
	v_cvt_f32_f16_e32 v27, v27
	v_cndmask_b32_e64 v25, 0x80000008, 8, s9
	s_and_b32 s9, s6, s7
	s_and_b32 s7, s5, s7
	s_delay_alu instid0(VALU_DEP_2) | instskip(NEXT) | instid1(VALU_DEP_2)
	v_mul_f32_e32 v27, s11, v27
	v_add_nc_u32_e32 v25, v25, v32
	s_delay_alu instid0(VALU_DEP_2)
	v_fma_mixhi_f16 v30, s10, v28, v27
	buffer_store_b64 v[29:30], v25, s[12:15], 0 offen
	v_add_nc_u32_e32 v25, 64, v34
	s_waitcnt lgkmcnt(0)
	s_waitcnt_vscnt null, 0x0
	s_barrier
	ds_store_2addr_stride64_b32 v131, v17, v18 offset1:1
	ds_store_2addr_stride64_b32 v131, v19, v20 offset0:2 offset1:3
	ds_store_2addr_stride64_b32 v131, v21, v22 offset0:4 offset1:5
	;; [unrolled: 1-line block ×3, first 2 shown]
	s_waitcnt lgkmcnt(0)
	v_lshlrev_b32_e32 v21, 1, v25
	s_barrier
	ds_load_b128 v[17:20], v0
	buffer_load_b64 v[21:22], v21, s[16:19], 0 offen
	s_waitcnt vmcnt(0)
	v_cndmask_b32_e64 v23, 0, v22, s9
	v_cndmask_b32_e64 v22, 0, v21, s9
	s_and_b32 s9, s3, s8
	s_delay_alu instid0(VALU_DEP_1) | instskip(NEXT) | instid1(VALU_DEP_1)
	v_cvt_f32_f16_e32 v21, v22
	v_mul_f32_e32 v21, s11, v21
	s_waitcnt lgkmcnt(0)
	s_delay_alu instid0(VALU_DEP_1) | instskip(SKIP_2) | instid1(VALU_DEP_2)
	v_fma_mixlo_f16 v21, s10, v17, v21
	v_lshrrev_b32_e32 v17, 16, v22
	v_cvt_f32_f16_e32 v22, v23
	v_cvt_f32_f16_e32 v17, v17
	s_delay_alu instid0(VALU_DEP_1) | instskip(NEXT) | instid1(VALU_DEP_1)
	v_dual_mul_f32 v22, s11, v22 :: v_dual_mul_f32 v17, s11, v17
	v_fma_mixlo_f16 v22, s10, v19, v22
	v_lshrrev_b32_e32 v19, 16, v23
	s_delay_alu instid0(VALU_DEP_3) | instskip(SKIP_1) | instid1(VALU_DEP_3)
	v_fma_mixhi_f16 v21, s10, v18, v17
	v_cndmask_b32_e64 v17, 0x80000000, 0, s9
	v_cvt_f32_f16_e32 v19, v19
	s_delay_alu instid0(VALU_DEP_2) | instskip(NEXT) | instid1(VALU_DEP_2)
	v_lshl_add_u32 v17, v26, 1, v17
	v_mul_f32_e32 v19, s11, v19
	s_delay_alu instid0(VALU_DEP_1)
	v_fma_mixhi_f16 v22, s10, v20, v19
	buffer_store_b64 v[21:22], v17, s[12:15], 0 offen
	buffer_load_b64 v[21:22], v31, s[16:19], 0 offen offset:136
	ds_load_b128 v[17:20], v0 offset:16
	s_waitcnt vmcnt(0)
	v_cndmask_b32_e64 v23, 0, v22, s7
	v_cndmask_b32_e64 v22, 0, v21, s7
	s_and_b32 s7, s4, s8
	s_delay_alu instid0(VALU_DEP_1) | instskip(NEXT) | instid1(VALU_DEP_1)
	v_cvt_f32_f16_e32 v21, v22
	v_mul_f32_e32 v21, s11, v21
	s_waitcnt lgkmcnt(0)
	s_delay_alu instid0(VALU_DEP_1) | instskip(SKIP_2) | instid1(VALU_DEP_2)
	v_fma_mixlo_f16 v21, s10, v17, v21
	v_lshrrev_b32_e32 v17, 16, v22
	v_cvt_f32_f16_e32 v22, v23
	v_cvt_f32_f16_e32 v17, v17
	s_delay_alu instid0(VALU_DEP_1) | instskip(NEXT) | instid1(VALU_DEP_1)
	v_dual_mul_f32 v22, s11, v22 :: v_dual_mul_f32 v17, s11, v17
	v_fma_mixlo_f16 v22, s10, v19, v22
	v_lshrrev_b32_e32 v19, 16, v23
	s_delay_alu instid0(VALU_DEP_3) | instskip(SKIP_1) | instid1(VALU_DEP_3)
	v_fma_mixhi_f16 v21, s10, v18, v17
	v_cndmask_b32_e64 v17, 0x80000088, v81, s7
	v_cvt_f32_f16_e32 v19, v19
	s_delay_alu instid0(VALU_DEP_2) | instskip(NEXT) | instid1(VALU_DEP_2)
	v_add_nc_u32_e32 v17, v17, v32
	v_mul_f32_e32 v19, s11, v19
	s_delay_alu instid0(VALU_DEP_1)
	v_fma_mixhi_f16 v22, s10, v20, v19
	buffer_store_b64 v[21:22], v17, s[12:15], 0 offen
	s_waitcnt lgkmcnt(0)
	s_waitcnt_vscnt null, 0x0
	s_barrier
	ds_store_2addr_stride64_b32 v131, v9, v10 offset1:1
	ds_store_2addr_stride64_b32 v131, v11, v12 offset0:2 offset1:3
	ds_store_2addr_stride64_b32 v131, v13, v14 offset0:4 offset1:5
	;; [unrolled: 1-line block ×3, first 2 shown]
	v_add_lshl_u32 v15, v25, s23, 1
	s_waitcnt lgkmcnt(0)
	s_barrier
	v_or_b32_e32 v17, 0xe0, v132
	ds_load_b128 v[9:12], v0
	buffer_load_b64 v[13:14], v15, s[16:19], 0 offen
	v_cmp_gt_i32_e64 s7, s22, v17
	s_delay_alu instid0(VALU_DEP_1)
	s_and_b32 s6, s6, s7
	s_and_b32 s1, s1, s7
	s_waitcnt vmcnt(0)
	v_cndmask_b32_e64 v16, 0, v14, s6
	v_cndmask_b32_e64 v14, 0, v13, s6
	v_cmp_gt_i32_e64 s6, s21, v17
	s_delay_alu instid0(VALU_DEP_2) | instskip(NEXT) | instid1(VALU_DEP_2)
	v_cvt_f32_f16_e32 v13, v14
	s_and_b32 s3, s3, s6
	s_and_b32 s0, s0, s6
	s_delay_alu instid0(VALU_DEP_1) | instskip(SKIP_1) | instid1(VALU_DEP_1)
	v_mul_f32_e32 v13, s11, v13
	s_waitcnt lgkmcnt(0)
	v_fma_mixlo_f16 v13, s10, v9, v13
	v_lshrrev_b32_e32 v9, 16, v14
	v_cvt_f32_f16_e32 v14, v16
	s_delay_alu instid0(VALU_DEP_2) | instskip(NEXT) | instid1(VALU_DEP_1)
	v_cvt_f32_f16_e32 v9, v9
	v_dual_mul_f32 v14, s11, v14 :: v_dual_mul_f32 v9, s11, v9
	s_delay_alu instid0(VALU_DEP_1) | instskip(SKIP_2) | instid1(VALU_DEP_4)
	v_fma_mixlo_f16 v14, s10, v11, v14
	v_lshrrev_b32_e32 v11, 16, v16
	v_add_lshl_u32 v16, v26, s20, 1
	v_fma_mixhi_f16 v13, s10, v10, v9
	v_cndmask_b32_e64 v9, 0x80000000, 0, s3
	s_delay_alu instid0(VALU_DEP_4) | instskip(SKIP_1) | instid1(VALU_DEP_2)
	v_cvt_f32_f16_e32 v11, v11
	s_and_b32 s3, s5, s7
	v_add_nc_u32_e32 v9, v16, v9
	s_delay_alu instid0(VALU_DEP_2) | instskip(NEXT) | instid1(VALU_DEP_1)
	v_mul_f32_e32 v11, s11, v11
	v_fma_mixhi_f16 v14, s10, v12, v11
	buffer_store_b64 v[13:14], v9, s[12:15], 0 offen
	buffer_load_b64 v[13:14], v15, s[16:19], 0 offen offset:8
	ds_load_b128 v[9:12], v0 offset:16
	s_waitcnt vmcnt(0)
	v_cndmask_b32_e64 v15, 0, v14, s3
	v_cndmask_b32_e64 v14, 0, v13, s3
	s_and_b32 s3, s4, s6
	s_delay_alu instid0(VALU_DEP_1) | instskip(NEXT) | instid1(VALU_DEP_1)
	v_cvt_f32_f16_e32 v13, v14
	v_mul_f32_e32 v13, s11, v13
	s_waitcnt lgkmcnt(0)
	s_delay_alu instid0(VALU_DEP_1) | instskip(SKIP_2) | instid1(VALU_DEP_2)
	v_fma_mixlo_f16 v13, s10, v9, v13
	v_lshrrev_b32_e32 v9, 16, v14
	v_cvt_f32_f16_e32 v14, v15
	v_cvt_f32_f16_e32 v9, v9
	s_delay_alu instid0(VALU_DEP_1) | instskip(NEXT) | instid1(VALU_DEP_1)
	v_dual_mul_f32 v14, s11, v14 :: v_dual_mul_f32 v9, s11, v9
	v_fma_mixlo_f16 v14, s10, v11, v14
	v_lshrrev_b32_e32 v11, 16, v15
	s_delay_alu instid0(VALU_DEP_3) | instskip(SKIP_1) | instid1(VALU_DEP_3)
	v_fma_mixhi_f16 v13, s10, v10, v9
	v_cndmask_b32_e64 v9, 0x80000008, 8, s3
	v_cvt_f32_f16_e32 v11, v11
	s_delay_alu instid0(VALU_DEP_2) | instskip(NEXT) | instid1(VALU_DEP_2)
	v_add_nc_u32_e32 v9, v9, v16
	v_mul_f32_e32 v11, s11, v11
	s_delay_alu instid0(VALU_DEP_1)
	v_fma_mixhi_f16 v14, s10, v12, v11
	buffer_store_b64 v[13:14], v9, s[12:15], 0 offen
	s_waitcnt lgkmcnt(0)
	s_waitcnt_vscnt null, 0x0
	s_barrier
	ds_store_2addr_stride64_b32 v131, v1, v2 offset1:1
	ds_store_2addr_stride64_b32 v131, v3, v4 offset0:2 offset1:3
	ds_store_2addr_stride64_b32 v131, v5, v6 offset0:4 offset1:5
	;; [unrolled: 1-line block ×3, first 2 shown]
	v_add_lshl_u32 v7, v34, s23, 1
	s_waitcnt lgkmcnt(0)
	s_barrier
	ds_load_b128 v[1:4], v0
	buffer_load_b64 v[5:6], v7, s[16:19], 0 offen
	s_waitcnt vmcnt(0)
	v_cndmask_b32_e64 v8, 0, v6, s1
	v_cndmask_b32_e64 v6, 0, v5, s1
	s_and_b32 s1, vcc_lo, s6
	s_and_b32 vcc_lo, s2, s7
	s_delay_alu instid0(VALU_DEP_1) | instskip(NEXT) | instid1(VALU_DEP_1)
	v_cvt_f32_f16_e32 v5, v6
	v_mul_f32_e32 v5, s11, v5
	s_waitcnt lgkmcnt(0)
	s_delay_alu instid0(VALU_DEP_1) | instskip(SKIP_2) | instid1(VALU_DEP_2)
	v_fma_mixlo_f16 v5, s10, v1, v5
	v_lshrrev_b32_e32 v1, 16, v6
	v_cvt_f32_f16_e32 v6, v8
	v_cvt_f32_f16_e32 v1, v1
	s_delay_alu instid0(VALU_DEP_1) | instskip(NEXT) | instid1(VALU_DEP_1)
	v_dual_mul_f32 v6, s11, v6 :: v_dual_mul_f32 v1, s11, v1
	v_fma_mixlo_f16 v6, s10, v3, v6
	v_lshrrev_b32_e32 v3, 16, v8
	v_add_lshl_u32 v8, v33, s20, 1
	s_delay_alu instid0(VALU_DEP_4) | instskip(SKIP_1) | instid1(VALU_DEP_4)
	v_fma_mixhi_f16 v5, s10, v2, v1
	v_cndmask_b32_e64 v1, 0x80000000, 0, s1
	v_cvt_f32_f16_e32 v3, v3
	s_delay_alu instid0(VALU_DEP_2) | instskip(NEXT) | instid1(VALU_DEP_2)
	v_add_nc_u32_e32 v1, v8, v1
	v_mul_f32_e32 v3, s11, v3
	s_delay_alu instid0(VALU_DEP_1)
	v_fma_mixhi_f16 v6, s10, v4, v3
	buffer_store_b64 v[5:6], v1, s[12:15], 0 offen
	buffer_load_b64 v[4:5], v7, s[16:19], 0 offen offset:8
	ds_load_b128 v[0:3], v0 offset:16
	s_waitcnt vmcnt(0)
	v_dual_cndmask_b32 v6, 0, v5 :: v_dual_cndmask_b32 v5, 0, v4
	s_delay_alu instid0(VALU_DEP_1) | instskip(NEXT) | instid1(VALU_DEP_1)
	v_cvt_f32_f16_e32 v4, v5
	v_mul_f32_e32 v4, s11, v4
	s_waitcnt lgkmcnt(0)
	s_delay_alu instid0(VALU_DEP_1) | instskip(SKIP_2) | instid1(VALU_DEP_2)
	v_fma_mixlo_f16 v4, s10, v0, v4
	v_lshrrev_b32_e32 v0, 16, v5
	v_cvt_f32_f16_e32 v5, v6
	v_cvt_f32_f16_e32 v0, v0
	s_delay_alu instid0(VALU_DEP_1) | instskip(NEXT) | instid1(VALU_DEP_1)
	v_dual_mul_f32 v5, s11, v5 :: v_dual_mul_f32 v0, s11, v0
	v_fma_mixlo_f16 v5, s10, v2, v5
	v_lshrrev_b32_e32 v2, 16, v6
	s_delay_alu instid0(VALU_DEP_3) | instskip(SKIP_1) | instid1(VALU_DEP_3)
	v_fma_mixhi_f16 v4, s10, v1, v0
	v_cndmask_b32_e64 v0, 0x80000008, 8, s0
	v_cvt_f32_f16_e32 v2, v2
	s_delay_alu instid0(VALU_DEP_2) | instskip(NEXT) | instid1(VALU_DEP_2)
	v_add_nc_u32_e32 v0, v0, v8
	v_mul_f32_e32 v2, s11, v2
	s_delay_alu instid0(VALU_DEP_1)
	v_fma_mixhi_f16 v5, s10, v3, v2
	buffer_store_b64 v[4:5], v0, s[12:15], 0 offen
	s_nop 0
	s_sendmsg sendmsg(MSG_DEALLOC_VGPRS)
	s_endpgm
	.section	.rodata,"a",@progbits
	.p2align	6, 0x0
	.amdhsa_kernel _ZN2ck35kernel_gemm_multiple_d_xdl_cshuffleINS_34GridwiseGemmMultipleD_xdl_cshuffleIDF16_DF16_DF16_ffNS_5TupleIJDF16_EEEDF16_NS_16tensor_operation12element_wise11PassThroughES6_12AlphaBetaAddLi1ELi256ELi256ELi128ELi32ELi8ELi8ELi16ELi16ELi8ELi2ENS_8SequenceIJLi4ELi64ELi1EEEENS8_IJLi1ELi0ELi2EEEESA_Li2ELi8ELi8ELb0ELi1ES9_SA_SA_Li2ELi8ELi8ELb0ELi1ELi1ELi1ENS8_IJLi1ELi32ELi1ELi8EEEELi4ELNS_13LoopSchedulerE0ELNS_15PipelineVersionE0EDF16_Lb0EEEDF16_DF16_NS2_IJPKDF16_EEEDF16_S6_S6_S7_NS_16TensorDescriptorINS2_IJNS_5EmbedINS2_IJiiEEENS2_IJiNS_17integral_constantIiLi1EEEEEELb0EEENS_8RightPadIiiLb0EEESQ_NS_7UnMergeINS2_IJiNSL_IiLi8EEEEEELb0EEENS_11PassThroughIiEEEEENS2_IJNS8_IJLi0EEEENS8_IJLi1EEEENS8_IJLi2EEEENS8_IJLi4EEEENS8_IJLi3EEEEEEENS2_IJNS8_IJLi1ELi2EEEES12_S11_NS8_IJLi5ELi6EEEENS8_IJLi7EEEEEEENS8_IJLi5ELi7ELi6EEEElEES19_NS2_IJNSI_INS2_IJSO_SQ_SQ_NSR_INS2_IJiNSL_IiLi256EEEEEELb0EEENSR_INS2_IJiNSL_IiLi128EEEEEELb0EEEEEENS2_IJSY_SZ_S10_S12_S11_EEENS2_IJS14_S12_S11_S15_NS8_IJLi7ELi8EEEEEEENS8_IJLi5ELi6ELi7ELi8EEEElEEEEES1L_NS_31BlockToCTileMap_M00_N0_M01AdaptILi256ELi128ENSI_INS2_IJSO_SQ_SQ_EEENS2_IJSY_SZ_S10_EEENS2_IJS14_S12_S11_EEENS8_IJLi3ELi4EEEElEEiEELb1EEEvPKT0_PKT1_T2_PT3_T4_T5_T6_T7_T8_T9_T10_T11_
		.amdhsa_group_segment_fixed_size 24672
		.amdhsa_private_segment_fixed_size 0
		.amdhsa_kernarg_size 364
		.amdhsa_user_sgpr_count 15
		.amdhsa_user_sgpr_dispatch_ptr 0
		.amdhsa_user_sgpr_queue_ptr 0
		.amdhsa_user_sgpr_kernarg_segment_ptr 1
		.amdhsa_user_sgpr_dispatch_id 0
		.amdhsa_user_sgpr_private_segment_size 0
		.amdhsa_wavefront_size32 1
		.amdhsa_uses_dynamic_stack 0
		.amdhsa_enable_private_segment 0
		.amdhsa_system_sgpr_workgroup_id_x 1
		.amdhsa_system_sgpr_workgroup_id_y 0
		.amdhsa_system_sgpr_workgroup_id_z 0
		.amdhsa_system_sgpr_workgroup_info 0
		.amdhsa_system_vgpr_workitem_id 0
		.amdhsa_next_free_vgpr 184
		.amdhsa_next_free_sgpr 37
		.amdhsa_reserve_vcc 1
		.amdhsa_float_round_mode_32 0
		.amdhsa_float_round_mode_16_64 0
		.amdhsa_float_denorm_mode_32 3
		.amdhsa_float_denorm_mode_16_64 3
		.amdhsa_dx10_clamp 1
		.amdhsa_ieee_mode 1
		.amdhsa_fp16_overflow 0
		.amdhsa_workgroup_processor_mode 1
		.amdhsa_memory_ordered 1
		.amdhsa_forward_progress 0
		.amdhsa_shared_vgpr_count 0
		.amdhsa_exception_fp_ieee_invalid_op 0
		.amdhsa_exception_fp_denorm_src 0
		.amdhsa_exception_fp_ieee_div_zero 0
		.amdhsa_exception_fp_ieee_overflow 0
		.amdhsa_exception_fp_ieee_underflow 0
		.amdhsa_exception_fp_ieee_inexact 0
		.amdhsa_exception_int_div_zero 0
	.end_amdhsa_kernel
	.section	.text._ZN2ck35kernel_gemm_multiple_d_xdl_cshuffleINS_34GridwiseGemmMultipleD_xdl_cshuffleIDF16_DF16_DF16_ffNS_5TupleIJDF16_EEEDF16_NS_16tensor_operation12element_wise11PassThroughES6_12AlphaBetaAddLi1ELi256ELi256ELi128ELi32ELi8ELi8ELi16ELi16ELi8ELi2ENS_8SequenceIJLi4ELi64ELi1EEEENS8_IJLi1ELi0ELi2EEEESA_Li2ELi8ELi8ELb0ELi1ES9_SA_SA_Li2ELi8ELi8ELb0ELi1ELi1ELi1ENS8_IJLi1ELi32ELi1ELi8EEEELi4ELNS_13LoopSchedulerE0ELNS_15PipelineVersionE0EDF16_Lb0EEEDF16_DF16_NS2_IJPKDF16_EEEDF16_S6_S6_S7_NS_16TensorDescriptorINS2_IJNS_5EmbedINS2_IJiiEEENS2_IJiNS_17integral_constantIiLi1EEEEEELb0EEENS_8RightPadIiiLb0EEESQ_NS_7UnMergeINS2_IJiNSL_IiLi8EEEEEELb0EEENS_11PassThroughIiEEEEENS2_IJNS8_IJLi0EEEENS8_IJLi1EEEENS8_IJLi2EEEENS8_IJLi4EEEENS8_IJLi3EEEEEEENS2_IJNS8_IJLi1ELi2EEEES12_S11_NS8_IJLi5ELi6EEEENS8_IJLi7EEEEEEENS8_IJLi5ELi7ELi6EEEElEES19_NS2_IJNSI_INS2_IJSO_SQ_SQ_NSR_INS2_IJiNSL_IiLi256EEEEEELb0EEENSR_INS2_IJiNSL_IiLi128EEEEEELb0EEEEEENS2_IJSY_SZ_S10_S12_S11_EEENS2_IJS14_S12_S11_S15_NS8_IJLi7ELi8EEEEEEENS8_IJLi5ELi6ELi7ELi8EEEElEEEEES1L_NS_31BlockToCTileMap_M00_N0_M01AdaptILi256ELi128ENSI_INS2_IJSO_SQ_SQ_EEENS2_IJSY_SZ_S10_EEENS2_IJS14_S12_S11_EEENS8_IJLi3ELi4EEEElEEiEELb1EEEvPKT0_PKT1_T2_PT3_T4_T5_T6_T7_T8_T9_T10_T11_,"axG",@progbits,_ZN2ck35kernel_gemm_multiple_d_xdl_cshuffleINS_34GridwiseGemmMultipleD_xdl_cshuffleIDF16_DF16_DF16_ffNS_5TupleIJDF16_EEEDF16_NS_16tensor_operation12element_wise11PassThroughES6_12AlphaBetaAddLi1ELi256ELi256ELi128ELi32ELi8ELi8ELi16ELi16ELi8ELi2ENS_8SequenceIJLi4ELi64ELi1EEEENS8_IJLi1ELi0ELi2EEEESA_Li2ELi8ELi8ELb0ELi1ES9_SA_SA_Li2ELi8ELi8ELb0ELi1ELi1ELi1ENS8_IJLi1ELi32ELi1ELi8EEEELi4ELNS_13LoopSchedulerE0ELNS_15PipelineVersionE0EDF16_Lb0EEEDF16_DF16_NS2_IJPKDF16_EEEDF16_S6_S6_S7_NS_16TensorDescriptorINS2_IJNS_5EmbedINS2_IJiiEEENS2_IJiNS_17integral_constantIiLi1EEEEEELb0EEENS_8RightPadIiiLb0EEESQ_NS_7UnMergeINS2_IJiNSL_IiLi8EEEEEELb0EEENS_11PassThroughIiEEEEENS2_IJNS8_IJLi0EEEENS8_IJLi1EEEENS8_IJLi2EEEENS8_IJLi4EEEENS8_IJLi3EEEEEEENS2_IJNS8_IJLi1ELi2EEEES12_S11_NS8_IJLi5ELi6EEEENS8_IJLi7EEEEEEENS8_IJLi5ELi7ELi6EEEElEES19_NS2_IJNSI_INS2_IJSO_SQ_SQ_NSR_INS2_IJiNSL_IiLi256EEEEEELb0EEENSR_INS2_IJiNSL_IiLi128EEEEEELb0EEEEEENS2_IJSY_SZ_S10_S12_S11_EEENS2_IJS14_S12_S11_S15_NS8_IJLi7ELi8EEEEEEENS8_IJLi5ELi6ELi7ELi8EEEElEEEEES1L_NS_31BlockToCTileMap_M00_N0_M01AdaptILi256ELi128ENSI_INS2_IJSO_SQ_SQ_EEENS2_IJSY_SZ_S10_EEENS2_IJS14_S12_S11_EEENS8_IJLi3ELi4EEEElEEiEELb1EEEvPKT0_PKT1_T2_PT3_T4_T5_T6_T7_T8_T9_T10_T11_,comdat
.Lfunc_end3:
	.size	_ZN2ck35kernel_gemm_multiple_d_xdl_cshuffleINS_34GridwiseGemmMultipleD_xdl_cshuffleIDF16_DF16_DF16_ffNS_5TupleIJDF16_EEEDF16_NS_16tensor_operation12element_wise11PassThroughES6_12AlphaBetaAddLi1ELi256ELi256ELi128ELi32ELi8ELi8ELi16ELi16ELi8ELi2ENS_8SequenceIJLi4ELi64ELi1EEEENS8_IJLi1ELi0ELi2EEEESA_Li2ELi8ELi8ELb0ELi1ES9_SA_SA_Li2ELi8ELi8ELb0ELi1ELi1ELi1ENS8_IJLi1ELi32ELi1ELi8EEEELi4ELNS_13LoopSchedulerE0ELNS_15PipelineVersionE0EDF16_Lb0EEEDF16_DF16_NS2_IJPKDF16_EEEDF16_S6_S6_S7_NS_16TensorDescriptorINS2_IJNS_5EmbedINS2_IJiiEEENS2_IJiNS_17integral_constantIiLi1EEEEEELb0EEENS_8RightPadIiiLb0EEESQ_NS_7UnMergeINS2_IJiNSL_IiLi8EEEEEELb0EEENS_11PassThroughIiEEEEENS2_IJNS8_IJLi0EEEENS8_IJLi1EEEENS8_IJLi2EEEENS8_IJLi4EEEENS8_IJLi3EEEEEEENS2_IJNS8_IJLi1ELi2EEEES12_S11_NS8_IJLi5ELi6EEEENS8_IJLi7EEEEEEENS8_IJLi5ELi7ELi6EEEElEES19_NS2_IJNSI_INS2_IJSO_SQ_SQ_NSR_INS2_IJiNSL_IiLi256EEEEEELb0EEENSR_INS2_IJiNSL_IiLi128EEEEEELb0EEEEEENS2_IJSY_SZ_S10_S12_S11_EEENS2_IJS14_S12_S11_S15_NS8_IJLi7ELi8EEEEEEENS8_IJLi5ELi6ELi7ELi8EEEElEEEEES1L_NS_31BlockToCTileMap_M00_N0_M01AdaptILi256ELi128ENSI_INS2_IJSO_SQ_SQ_EEENS2_IJSY_SZ_S10_EEENS2_IJS14_S12_S11_EEENS8_IJLi3ELi4EEEElEEiEELb1EEEvPKT0_PKT1_T2_PT3_T4_T5_T6_T7_T8_T9_T10_T11_, .Lfunc_end3-_ZN2ck35kernel_gemm_multiple_d_xdl_cshuffleINS_34GridwiseGemmMultipleD_xdl_cshuffleIDF16_DF16_DF16_ffNS_5TupleIJDF16_EEEDF16_NS_16tensor_operation12element_wise11PassThroughES6_12AlphaBetaAddLi1ELi256ELi256ELi128ELi32ELi8ELi8ELi16ELi16ELi8ELi2ENS_8SequenceIJLi4ELi64ELi1EEEENS8_IJLi1ELi0ELi2EEEESA_Li2ELi8ELi8ELb0ELi1ES9_SA_SA_Li2ELi8ELi8ELb0ELi1ELi1ELi1ENS8_IJLi1ELi32ELi1ELi8EEEELi4ELNS_13LoopSchedulerE0ELNS_15PipelineVersionE0EDF16_Lb0EEEDF16_DF16_NS2_IJPKDF16_EEEDF16_S6_S6_S7_NS_16TensorDescriptorINS2_IJNS_5EmbedINS2_IJiiEEENS2_IJiNS_17integral_constantIiLi1EEEEEELb0EEENS_8RightPadIiiLb0EEESQ_NS_7UnMergeINS2_IJiNSL_IiLi8EEEEEELb0EEENS_11PassThroughIiEEEEENS2_IJNS8_IJLi0EEEENS8_IJLi1EEEENS8_IJLi2EEEENS8_IJLi4EEEENS8_IJLi3EEEEEEENS2_IJNS8_IJLi1ELi2EEEES12_S11_NS8_IJLi5ELi6EEEENS8_IJLi7EEEEEEENS8_IJLi5ELi7ELi6EEEElEES19_NS2_IJNSI_INS2_IJSO_SQ_SQ_NSR_INS2_IJiNSL_IiLi256EEEEEELb0EEENSR_INS2_IJiNSL_IiLi128EEEEEELb0EEEEEENS2_IJSY_SZ_S10_S12_S11_EEENS2_IJS14_S12_S11_S15_NS8_IJLi7ELi8EEEEEEENS8_IJLi5ELi6ELi7ELi8EEEElEEEEES1L_NS_31BlockToCTileMap_M00_N0_M01AdaptILi256ELi128ENSI_INS2_IJSO_SQ_SQ_EEENS2_IJSY_SZ_S10_EEENS2_IJS14_S12_S11_EEENS8_IJLi3ELi4EEEElEEiEELb1EEEvPKT0_PKT1_T2_PT3_T4_T5_T6_T7_T8_T9_T10_T11_
                                        ; -- End function
	.section	.AMDGPU.csdata,"",@progbits
; Kernel info:
; codeLenInByte = 10700
; NumSgprs: 39
; NumVgprs: 184
; ScratchSize: 0
; MemoryBound: 0
; FloatMode: 240
; IeeeMode: 1
; LDSByteSize: 24672 bytes/workgroup (compile time only)
; SGPRBlocks: 4
; VGPRBlocks: 22
; NumSGPRsForWavesPerEU: 39
; NumVGPRsForWavesPerEU: 184
; Occupancy: 8
; WaveLimiterHint : 0
; COMPUTE_PGM_RSRC2:SCRATCH_EN: 0
; COMPUTE_PGM_RSRC2:USER_SGPR: 15
; COMPUTE_PGM_RSRC2:TRAP_HANDLER: 0
; COMPUTE_PGM_RSRC2:TGID_X_EN: 1
; COMPUTE_PGM_RSRC2:TGID_Y_EN: 0
; COMPUTE_PGM_RSRC2:TGID_Z_EN: 0
; COMPUTE_PGM_RSRC2:TIDIG_COMP_CNT: 0
	.section	.text._ZN2ck35kernel_gemm_multiple_d_xdl_cshuffleINS_34GridwiseGemmMultipleD_xdl_cshuffleIDF16_DF16_DF16_ffNS_5TupleIJDF16_EEEDF16_NS_16tensor_operation12element_wise11PassThroughES6_12AlphaBetaAddLi1ELi256ELi256ELi128ELi32ELi8ELi8ELi16ELi16ELi8ELi2ENS_8SequenceIJLi4ELi64ELi1EEEENS8_IJLi1ELi0ELi2EEEESA_Li2ELi8ELi8ELb0ELi1ES9_SA_SA_Li2ELi8ELi8ELb0ELi1ELi1ELi1ENS8_IJLi1ELi32ELi1ELi8EEEELi4ELNS_13LoopSchedulerE0ELNS_15PipelineVersionE0EDF16_Lb0EEEDF16_DF16_NS2_IJPKDF16_EEEDF16_S6_S6_S7_NS_16TensorDescriptorINS2_IJNS_5EmbedINS2_IJiiEEENS2_IJiNS_17integral_constantIiLi1EEEEEELb0EEENS_8RightPadIiiLb0EEESQ_NS_7UnMergeINS2_IJiNSL_IiLi8EEEEEELb0EEENS_11PassThroughIiEEEEENS2_IJNS8_IJLi0EEEENS8_IJLi1EEEENS8_IJLi2EEEENS8_IJLi4EEEENS8_IJLi3EEEEEEENS2_IJNS8_IJLi1ELi2EEEES12_S11_NS8_IJLi5ELi6EEEENS8_IJLi7EEEEEEENS8_IJLi5ELi7ELi6EEEElEES19_NS2_IJNSI_INS2_IJSO_SQ_SQ_NSR_INS2_IJiNSL_IiLi256EEEEEELb0EEENSR_INS2_IJiNSL_IiLi128EEEEEELb0EEEEEENS2_IJSY_SZ_S10_S12_S11_EEENS2_IJS14_S12_S11_S15_NS8_IJLi7ELi8EEEEEEENS8_IJLi5ELi6ELi7ELi8EEEElEEEEES1L_NS_31BlockToCTileMap_M00_N0_M01AdaptILi256ELi128ENSI_INS2_IJSO_SQ_SQ_EEENS2_IJSY_SZ_S10_EEENS2_IJS14_S12_S11_EEENS8_IJLi3ELi4EEEElEEiEELb0EEEvPKT0_PKT1_T2_PT3_T4_T5_T6_T7_T8_T9_T10_T11_,"axG",@progbits,_ZN2ck35kernel_gemm_multiple_d_xdl_cshuffleINS_34GridwiseGemmMultipleD_xdl_cshuffleIDF16_DF16_DF16_ffNS_5TupleIJDF16_EEEDF16_NS_16tensor_operation12element_wise11PassThroughES6_12AlphaBetaAddLi1ELi256ELi256ELi128ELi32ELi8ELi8ELi16ELi16ELi8ELi2ENS_8SequenceIJLi4ELi64ELi1EEEENS8_IJLi1ELi0ELi2EEEESA_Li2ELi8ELi8ELb0ELi1ES9_SA_SA_Li2ELi8ELi8ELb0ELi1ELi1ELi1ENS8_IJLi1ELi32ELi1ELi8EEEELi4ELNS_13LoopSchedulerE0ELNS_15PipelineVersionE0EDF16_Lb0EEEDF16_DF16_NS2_IJPKDF16_EEEDF16_S6_S6_S7_NS_16TensorDescriptorINS2_IJNS_5EmbedINS2_IJiiEEENS2_IJiNS_17integral_constantIiLi1EEEEEELb0EEENS_8RightPadIiiLb0EEESQ_NS_7UnMergeINS2_IJiNSL_IiLi8EEEEEELb0EEENS_11PassThroughIiEEEEENS2_IJNS8_IJLi0EEEENS8_IJLi1EEEENS8_IJLi2EEEENS8_IJLi4EEEENS8_IJLi3EEEEEEENS2_IJNS8_IJLi1ELi2EEEES12_S11_NS8_IJLi5ELi6EEEENS8_IJLi7EEEEEEENS8_IJLi5ELi7ELi6EEEElEES19_NS2_IJNSI_INS2_IJSO_SQ_SQ_NSR_INS2_IJiNSL_IiLi256EEEEEELb0EEENSR_INS2_IJiNSL_IiLi128EEEEEELb0EEEEEENS2_IJSY_SZ_S10_S12_S11_EEENS2_IJS14_S12_S11_S15_NS8_IJLi7ELi8EEEEEEENS8_IJLi5ELi6ELi7ELi8EEEElEEEEES1L_NS_31BlockToCTileMap_M00_N0_M01AdaptILi256ELi128ENSI_INS2_IJSO_SQ_SQ_EEENS2_IJSY_SZ_S10_EEENS2_IJS14_S12_S11_EEENS8_IJLi3ELi4EEEElEEiEELb0EEEvPKT0_PKT1_T2_PT3_T4_T5_T6_T7_T8_T9_T10_T11_,comdat
	.protected	_ZN2ck35kernel_gemm_multiple_d_xdl_cshuffleINS_34GridwiseGemmMultipleD_xdl_cshuffleIDF16_DF16_DF16_ffNS_5TupleIJDF16_EEEDF16_NS_16tensor_operation12element_wise11PassThroughES6_12AlphaBetaAddLi1ELi256ELi256ELi128ELi32ELi8ELi8ELi16ELi16ELi8ELi2ENS_8SequenceIJLi4ELi64ELi1EEEENS8_IJLi1ELi0ELi2EEEESA_Li2ELi8ELi8ELb0ELi1ES9_SA_SA_Li2ELi8ELi8ELb0ELi1ELi1ELi1ENS8_IJLi1ELi32ELi1ELi8EEEELi4ELNS_13LoopSchedulerE0ELNS_15PipelineVersionE0EDF16_Lb0EEEDF16_DF16_NS2_IJPKDF16_EEEDF16_S6_S6_S7_NS_16TensorDescriptorINS2_IJNS_5EmbedINS2_IJiiEEENS2_IJiNS_17integral_constantIiLi1EEEEEELb0EEENS_8RightPadIiiLb0EEESQ_NS_7UnMergeINS2_IJiNSL_IiLi8EEEEEELb0EEENS_11PassThroughIiEEEEENS2_IJNS8_IJLi0EEEENS8_IJLi1EEEENS8_IJLi2EEEENS8_IJLi4EEEENS8_IJLi3EEEEEEENS2_IJNS8_IJLi1ELi2EEEES12_S11_NS8_IJLi5ELi6EEEENS8_IJLi7EEEEEEENS8_IJLi5ELi7ELi6EEEElEES19_NS2_IJNSI_INS2_IJSO_SQ_SQ_NSR_INS2_IJiNSL_IiLi256EEEEEELb0EEENSR_INS2_IJiNSL_IiLi128EEEEEELb0EEEEEENS2_IJSY_SZ_S10_S12_S11_EEENS2_IJS14_S12_S11_S15_NS8_IJLi7ELi8EEEEEEENS8_IJLi5ELi6ELi7ELi8EEEElEEEEES1L_NS_31BlockToCTileMap_M00_N0_M01AdaptILi256ELi128ENSI_INS2_IJSO_SQ_SQ_EEENS2_IJSY_SZ_S10_EEENS2_IJS14_S12_S11_EEENS8_IJLi3ELi4EEEElEEiEELb0EEEvPKT0_PKT1_T2_PT3_T4_T5_T6_T7_T8_T9_T10_T11_ ; -- Begin function _ZN2ck35kernel_gemm_multiple_d_xdl_cshuffleINS_34GridwiseGemmMultipleD_xdl_cshuffleIDF16_DF16_DF16_ffNS_5TupleIJDF16_EEEDF16_NS_16tensor_operation12element_wise11PassThroughES6_12AlphaBetaAddLi1ELi256ELi256ELi128ELi32ELi8ELi8ELi16ELi16ELi8ELi2ENS_8SequenceIJLi4ELi64ELi1EEEENS8_IJLi1ELi0ELi2EEEESA_Li2ELi8ELi8ELb0ELi1ES9_SA_SA_Li2ELi8ELi8ELb0ELi1ELi1ELi1ENS8_IJLi1ELi32ELi1ELi8EEEELi4ELNS_13LoopSchedulerE0ELNS_15PipelineVersionE0EDF16_Lb0EEEDF16_DF16_NS2_IJPKDF16_EEEDF16_S6_S6_S7_NS_16TensorDescriptorINS2_IJNS_5EmbedINS2_IJiiEEENS2_IJiNS_17integral_constantIiLi1EEEEEELb0EEENS_8RightPadIiiLb0EEESQ_NS_7UnMergeINS2_IJiNSL_IiLi8EEEEEELb0EEENS_11PassThroughIiEEEEENS2_IJNS8_IJLi0EEEENS8_IJLi1EEEENS8_IJLi2EEEENS8_IJLi4EEEENS8_IJLi3EEEEEEENS2_IJNS8_IJLi1ELi2EEEES12_S11_NS8_IJLi5ELi6EEEENS8_IJLi7EEEEEEENS8_IJLi5ELi7ELi6EEEElEES19_NS2_IJNSI_INS2_IJSO_SQ_SQ_NSR_INS2_IJiNSL_IiLi256EEEEEELb0EEENSR_INS2_IJiNSL_IiLi128EEEEEELb0EEEEEENS2_IJSY_SZ_S10_S12_S11_EEENS2_IJS14_S12_S11_S15_NS8_IJLi7ELi8EEEEEEENS8_IJLi5ELi6ELi7ELi8EEEElEEEEES1L_NS_31BlockToCTileMap_M00_N0_M01AdaptILi256ELi128ENSI_INS2_IJSO_SQ_SQ_EEENS2_IJSY_SZ_S10_EEENS2_IJS14_S12_S11_EEENS8_IJLi3ELi4EEEElEEiEELb0EEEvPKT0_PKT1_T2_PT3_T4_T5_T6_T7_T8_T9_T10_T11_
	.globl	_ZN2ck35kernel_gemm_multiple_d_xdl_cshuffleINS_34GridwiseGemmMultipleD_xdl_cshuffleIDF16_DF16_DF16_ffNS_5TupleIJDF16_EEEDF16_NS_16tensor_operation12element_wise11PassThroughES6_12AlphaBetaAddLi1ELi256ELi256ELi128ELi32ELi8ELi8ELi16ELi16ELi8ELi2ENS_8SequenceIJLi4ELi64ELi1EEEENS8_IJLi1ELi0ELi2EEEESA_Li2ELi8ELi8ELb0ELi1ES9_SA_SA_Li2ELi8ELi8ELb0ELi1ELi1ELi1ENS8_IJLi1ELi32ELi1ELi8EEEELi4ELNS_13LoopSchedulerE0ELNS_15PipelineVersionE0EDF16_Lb0EEEDF16_DF16_NS2_IJPKDF16_EEEDF16_S6_S6_S7_NS_16TensorDescriptorINS2_IJNS_5EmbedINS2_IJiiEEENS2_IJiNS_17integral_constantIiLi1EEEEEELb0EEENS_8RightPadIiiLb0EEESQ_NS_7UnMergeINS2_IJiNSL_IiLi8EEEEEELb0EEENS_11PassThroughIiEEEEENS2_IJNS8_IJLi0EEEENS8_IJLi1EEEENS8_IJLi2EEEENS8_IJLi4EEEENS8_IJLi3EEEEEEENS2_IJNS8_IJLi1ELi2EEEES12_S11_NS8_IJLi5ELi6EEEENS8_IJLi7EEEEEEENS8_IJLi5ELi7ELi6EEEElEES19_NS2_IJNSI_INS2_IJSO_SQ_SQ_NSR_INS2_IJiNSL_IiLi256EEEEEELb0EEENSR_INS2_IJiNSL_IiLi128EEEEEELb0EEEEEENS2_IJSY_SZ_S10_S12_S11_EEENS2_IJS14_S12_S11_S15_NS8_IJLi7ELi8EEEEEEENS8_IJLi5ELi6ELi7ELi8EEEElEEEEES1L_NS_31BlockToCTileMap_M00_N0_M01AdaptILi256ELi128ENSI_INS2_IJSO_SQ_SQ_EEENS2_IJSY_SZ_S10_EEENS2_IJS14_S12_S11_EEENS8_IJLi3ELi4EEEElEEiEELb0EEEvPKT0_PKT1_T2_PT3_T4_T5_T6_T7_T8_T9_T10_T11_
	.p2align	8
	.type	_ZN2ck35kernel_gemm_multiple_d_xdl_cshuffleINS_34GridwiseGemmMultipleD_xdl_cshuffleIDF16_DF16_DF16_ffNS_5TupleIJDF16_EEEDF16_NS_16tensor_operation12element_wise11PassThroughES6_12AlphaBetaAddLi1ELi256ELi256ELi128ELi32ELi8ELi8ELi16ELi16ELi8ELi2ENS_8SequenceIJLi4ELi64ELi1EEEENS8_IJLi1ELi0ELi2EEEESA_Li2ELi8ELi8ELb0ELi1ES9_SA_SA_Li2ELi8ELi8ELb0ELi1ELi1ELi1ENS8_IJLi1ELi32ELi1ELi8EEEELi4ELNS_13LoopSchedulerE0ELNS_15PipelineVersionE0EDF16_Lb0EEEDF16_DF16_NS2_IJPKDF16_EEEDF16_S6_S6_S7_NS_16TensorDescriptorINS2_IJNS_5EmbedINS2_IJiiEEENS2_IJiNS_17integral_constantIiLi1EEEEEELb0EEENS_8RightPadIiiLb0EEESQ_NS_7UnMergeINS2_IJiNSL_IiLi8EEEEEELb0EEENS_11PassThroughIiEEEEENS2_IJNS8_IJLi0EEEENS8_IJLi1EEEENS8_IJLi2EEEENS8_IJLi4EEEENS8_IJLi3EEEEEEENS2_IJNS8_IJLi1ELi2EEEES12_S11_NS8_IJLi5ELi6EEEENS8_IJLi7EEEEEEENS8_IJLi5ELi7ELi6EEEElEES19_NS2_IJNSI_INS2_IJSO_SQ_SQ_NSR_INS2_IJiNSL_IiLi256EEEEEELb0EEENSR_INS2_IJiNSL_IiLi128EEEEEELb0EEEEEENS2_IJSY_SZ_S10_S12_S11_EEENS2_IJS14_S12_S11_S15_NS8_IJLi7ELi8EEEEEEENS8_IJLi5ELi6ELi7ELi8EEEElEEEEES1L_NS_31BlockToCTileMap_M00_N0_M01AdaptILi256ELi128ENSI_INS2_IJSO_SQ_SQ_EEENS2_IJSY_SZ_S10_EEENS2_IJS14_S12_S11_EEENS8_IJLi3ELi4EEEElEEiEELb0EEEvPKT0_PKT1_T2_PT3_T4_T5_T6_T7_T8_T9_T10_T11_,@function
_ZN2ck35kernel_gemm_multiple_d_xdl_cshuffleINS_34GridwiseGemmMultipleD_xdl_cshuffleIDF16_DF16_DF16_ffNS_5TupleIJDF16_EEEDF16_NS_16tensor_operation12element_wise11PassThroughES6_12AlphaBetaAddLi1ELi256ELi256ELi128ELi32ELi8ELi8ELi16ELi16ELi8ELi2ENS_8SequenceIJLi4ELi64ELi1EEEENS8_IJLi1ELi0ELi2EEEESA_Li2ELi8ELi8ELb0ELi1ES9_SA_SA_Li2ELi8ELi8ELb0ELi1ELi1ELi1ENS8_IJLi1ELi32ELi1ELi8EEEELi4ELNS_13LoopSchedulerE0ELNS_15PipelineVersionE0EDF16_Lb0EEEDF16_DF16_NS2_IJPKDF16_EEEDF16_S6_S6_S7_NS_16TensorDescriptorINS2_IJNS_5EmbedINS2_IJiiEEENS2_IJiNS_17integral_constantIiLi1EEEEEELb0EEENS_8RightPadIiiLb0EEESQ_NS_7UnMergeINS2_IJiNSL_IiLi8EEEEEELb0EEENS_11PassThroughIiEEEEENS2_IJNS8_IJLi0EEEENS8_IJLi1EEEENS8_IJLi2EEEENS8_IJLi4EEEENS8_IJLi3EEEEEEENS2_IJNS8_IJLi1ELi2EEEES12_S11_NS8_IJLi5ELi6EEEENS8_IJLi7EEEEEEENS8_IJLi5ELi7ELi6EEEElEES19_NS2_IJNSI_INS2_IJSO_SQ_SQ_NSR_INS2_IJiNSL_IiLi256EEEEEELb0EEENSR_INS2_IJiNSL_IiLi128EEEEEELb0EEEEEENS2_IJSY_SZ_S10_S12_S11_EEENS2_IJS14_S12_S11_S15_NS8_IJLi7ELi8EEEEEEENS8_IJLi5ELi6ELi7ELi8EEEElEEEEES1L_NS_31BlockToCTileMap_M00_N0_M01AdaptILi256ELi128ENSI_INS2_IJSO_SQ_SQ_EEENS2_IJSY_SZ_S10_EEENS2_IJS14_S12_S11_EEENS8_IJLi3ELi4EEEElEEiEELb0EEEvPKT0_PKT1_T2_PT3_T4_T5_T6_T7_T8_T9_T10_T11_: ; @_ZN2ck35kernel_gemm_multiple_d_xdl_cshuffleINS_34GridwiseGemmMultipleD_xdl_cshuffleIDF16_DF16_DF16_ffNS_5TupleIJDF16_EEEDF16_NS_16tensor_operation12element_wise11PassThroughES6_12AlphaBetaAddLi1ELi256ELi256ELi128ELi32ELi8ELi8ELi16ELi16ELi8ELi2ENS_8SequenceIJLi4ELi64ELi1EEEENS8_IJLi1ELi0ELi2EEEESA_Li2ELi8ELi8ELb0ELi1ES9_SA_SA_Li2ELi8ELi8ELb0ELi1ELi1ELi1ENS8_IJLi1ELi32ELi1ELi8EEEELi4ELNS_13LoopSchedulerE0ELNS_15PipelineVersionE0EDF16_Lb0EEEDF16_DF16_NS2_IJPKDF16_EEEDF16_S6_S6_S7_NS_16TensorDescriptorINS2_IJNS_5EmbedINS2_IJiiEEENS2_IJiNS_17integral_constantIiLi1EEEEEELb0EEENS_8RightPadIiiLb0EEESQ_NS_7UnMergeINS2_IJiNSL_IiLi8EEEEEELb0EEENS_11PassThroughIiEEEEENS2_IJNS8_IJLi0EEEENS8_IJLi1EEEENS8_IJLi2EEEENS8_IJLi4EEEENS8_IJLi3EEEEEEENS2_IJNS8_IJLi1ELi2EEEES12_S11_NS8_IJLi5ELi6EEEENS8_IJLi7EEEEEEENS8_IJLi5ELi7ELi6EEEElEES19_NS2_IJNSI_INS2_IJSO_SQ_SQ_NSR_INS2_IJiNSL_IiLi256EEEEEELb0EEENSR_INS2_IJiNSL_IiLi128EEEEEELb0EEEEEENS2_IJSY_SZ_S10_S12_S11_EEENS2_IJS14_S12_S11_S15_NS8_IJLi7ELi8EEEEEEENS8_IJLi5ELi6ELi7ELi8EEEElEEEEES1L_NS_31BlockToCTileMap_M00_N0_M01AdaptILi256ELi128ENSI_INS2_IJSO_SQ_SQ_EEENS2_IJSY_SZ_S10_EEENS2_IJS14_S12_S11_EEENS8_IJLi3ELi4EEEElEEiEELb0EEEvPKT0_PKT1_T2_PT3_T4_T5_T6_T7_T8_T9_T10_T11_
; %bb.0:
	s_clause 0x2
	s_load_b64 s[2:3], s[0:1], 0x160
	s_load_b32 s4, s[0:1], 0x168
	s_load_b32 s22, s[0:1], 0x158
	s_abs_i32 s9, s15
	s_mov_b32 s36, 0
	s_load_b32 s20, s[0:1], 0x44
	s_mov_b32 s37, s36
	s_mov_b32 s38, s36
	s_mov_b32 s39, s36
	s_mov_b32 s40, s36
	s_mov_b32 s41, s36
	s_mov_b32 s42, s36
	s_mov_b32 s43, s36
	v_and_b32_e32 v37, 0xfc, v0
	v_lshrrev_b32_e32 v39, 1, v0
	s_mov_b32 s19, 0x31004000
	v_lshrrev_b32_e32 v180, 3, v0
	v_and_b32_e32 v36, 3, v0
	s_load_b32 s26, s[0:1], 0xb8
	v_and_b32_e32 v40, 0x7e, v39
	s_waitcnt lgkmcnt(0)
	s_addk_i32 s2, 0xff
	s_addk_i32 s3, 0x7f
	s_ashr_i32 s5, s2, 31
	s_ashr_i32 s6, s3, 31
	s_lshr_b32 s5, s5, 24
	s_lshr_b32 s6, s6, 25
	s_add_i32 s2, s2, s5
	s_add_i32 s3, s3, s6
	s_ashr_i32 s5, s2, 8
	s_ashr_i32 s3, s3, 7
	v_lshlrev_b32_e32 v13, 3, v36
	s_mul_i32 s6, s3, s5
	s_delay_alu instid0(SALU_CYCLE_1) | instskip(NEXT) | instid1(SALU_CYCLE_1)
	s_abs_i32 s6, s6
	v_cvt_f32_u32_e32 v1, s6
	s_sub_i32 s8, 0, s6
	s_delay_alu instid0(VALU_DEP_1) | instskip(SKIP_2) | instid1(VALU_DEP_1)
	v_rcp_iflag_f32_e32 v1, v1
	s_waitcnt_depctr 0xfff
	v_mul_f32_e32 v1, 0x4f7ffffe, v1
	v_cvt_u32_f32_e32 v1, v1
	s_delay_alu instid0(VALU_DEP_1) | instskip(NEXT) | instid1(VALU_DEP_1)
	v_readfirstlane_b32 s7, v1
	s_mul_i32 s8, s8, s7
	s_delay_alu instid0(SALU_CYCLE_1) | instskip(NEXT) | instid1(SALU_CYCLE_1)
	s_mul_hi_u32 s8, s7, s8
	s_add_i32 s7, s7, s8
	s_ashr_i32 s8, s15, 31
	s_mul_hi_u32 s7, s9, s7
	s_delay_alu instid0(SALU_CYCLE_1) | instskip(NEXT) | instid1(SALU_CYCLE_1)
	s_mul_i32 s7, s7, s6
	s_sub_i32 s7, s9, s7
	s_delay_alu instid0(SALU_CYCLE_1) | instskip(SKIP_2) | instid1(SALU_CYCLE_1)
	s_sub_i32 s9, s7, s6
	s_cmp_ge_u32 s7, s6
	s_cselect_b32 s7, s9, s7
	s_sub_i32 s9, s7, s6
	s_cmp_ge_u32 s7, s6
	s_cselect_b32 s6, s9, s7
	s_abs_i32 s7, s3
	s_xor_b32 s6, s6, s8
	v_cvt_f32_u32_e32 v1, s7
	s_sub_i32 s10, 0, s7
	s_sub_i32 s6, s6, s8
	s_delay_alu instid0(VALU_DEP_1) | instskip(SKIP_2) | instid1(VALU_DEP_1)
	v_rcp_iflag_f32_e32 v1, v1
	s_waitcnt_depctr 0xfff
	v_mul_f32_e32 v1, 0x4f7ffffe, v1
	v_cvt_u32_f32_e32 v1, v1
	s_delay_alu instid0(VALU_DEP_1) | instskip(NEXT) | instid1(VALU_DEP_1)
	v_readfirstlane_b32 s9, v1
	s_mul_i32 s10, s10, s9
	s_delay_alu instid0(SALU_CYCLE_1) | instskip(SKIP_2) | instid1(SALU_CYCLE_1)
	s_mul_hi_u32 s8, s9, s10
	s_abs_i32 s10, s6
	s_add_i32 s9, s9, s8
	s_mul_hi_u32 s8, s10, s9
	s_xor_b32 s9, s6, s3
	s_mul_i32 s11, s8, s7
	s_ashr_i32 s9, s9, 31
	s_sub_i32 s10, s10, s11
	s_add_i32 s11, s8, 1
	s_sub_i32 s12, s10, s7
	s_cmp_ge_u32 s10, s7
	s_cselect_b32 s8, s11, s8
	s_cselect_b32 s10, s12, s10
	s_add_i32 s11, s8, 1
	s_cmp_ge_u32 s10, s7
	s_cselect_b32 s7, s11, s8
	s_abs_i32 s8, s4
	s_abs_i32 s12, s5
	v_cvt_f32_u32_e32 v1, s8
	s_sub_i32 s11, 0, s8
	s_xor_b32 s7, s7, s9
	s_ashr_i32 s2, s2, 31
	s_sub_i32 s7, s7, s9
	v_rcp_iflag_f32_e32 v1, v1
	s_waitcnt_depctr 0xfff
	v_mul_f32_e32 v1, 0x4f7ffffe, v1
	s_delay_alu instid0(VALU_DEP_1) | instskip(NEXT) | instid1(VALU_DEP_1)
	v_cvt_u32_f32_e32 v1, v1
	v_readfirstlane_b32 s10, v1
	s_delay_alu instid0(VALU_DEP_1) | instskip(NEXT) | instid1(SALU_CYCLE_1)
	s_mul_i32 s11, s11, s10
	s_mul_hi_u32 s11, s10, s11
	s_delay_alu instid0(SALU_CYCLE_1) | instskip(NEXT) | instid1(SALU_CYCLE_1)
	s_add_i32 s10, s10, s11
	s_mul_hi_u32 s11, s12, s10
	s_delay_alu instid0(SALU_CYCLE_1) | instskip(NEXT) | instid1(SALU_CYCLE_1)
	s_mul_i32 s11, s11, s8
	s_sub_i32 s11, s12, s11
	s_delay_alu instid0(SALU_CYCLE_1) | instskip(SKIP_2) | instid1(SALU_CYCLE_1)
	s_sub_i32 s9, s11, s8
	s_cmp_ge_u32 s11, s8
	s_cselect_b32 s9, s9, s11
	s_sub_i32 s11, s9, s8
	s_cmp_ge_u32 s9, s8
	s_cselect_b32 s9, s11, s9
	s_delay_alu instid0(SALU_CYCLE_1) | instskip(NEXT) | instid1(SALU_CYCLE_1)
	s_xor_b32 s9, s9, s2
	s_sub_i32 s2, s9, s2
	s_mul_i32 s9, s7, s3
	s_sub_i32 s5, s5, s2
	s_delay_alu instid0(SALU_CYCLE_1) | instskip(SKIP_4) | instid1(SALU_CYCLE_1)
	s_cmp_lt_i32 s7, s5
	s_cselect_b32 s2, s4, s2
	s_abs_i32 s4, s7
	s_sub_i32 s6, s6, s9
	s_mul_hi_u32 s5, s4, s10
	s_mul_i32 s5, s5, s8
	s_delay_alu instid0(SALU_CYCLE_1) | instskip(SKIP_4) | instid1(SALU_CYCLE_1)
	s_sub_i32 s4, s4, s5
	s_ashr_i32 s5, s7, 31
	s_sub_i32 s9, s4, s8
	s_cmp_ge_u32 s4, s8
	s_cselect_b32 s4, s9, s4
	s_sub_i32 s9, s4, s8
	s_cmp_ge_u32 s4, s8
	s_cselect_b32 s4, s9, s4
	s_abs_i32 s8, s2
	s_xor_b32 s4, s4, s5
	v_cvt_f32_u32_e32 v1, s8
	s_sub_i32 s4, s4, s5
	s_sub_i32 s5, 0, s8
	s_mul_i32 s3, s4, s3
	s_delay_alu instid0(VALU_DEP_1) | instskip(SKIP_1) | instid1(SALU_CYCLE_1)
	v_rcp_iflag_f32_e32 v1, v1
	s_add_i32 s3, s3, s6
	s_abs_i32 s6, s3
	s_waitcnt_depctr 0xfff
	v_mul_f32_e32 v1, 0x4f7ffffe, v1
	s_delay_alu instid0(VALU_DEP_1) | instskip(NEXT) | instid1(VALU_DEP_1)
	v_cvt_u32_f32_e32 v1, v1
	v_readfirstlane_b32 s9, v1
	s_delay_alu instid0(VALU_DEP_1) | instskip(NEXT) | instid1(SALU_CYCLE_1)
	s_mul_i32 s5, s5, s9
	s_mul_hi_u32 s5, s9, s5
	s_delay_alu instid0(SALU_CYCLE_1) | instskip(NEXT) | instid1(SALU_CYCLE_1)
	s_add_i32 s9, s9, s5
	s_mul_hi_u32 s5, s6, s9
	s_xor_b32 s9, s3, s2
	s_mul_i32 s10, s5, s8
	s_ashr_i32 s16, s9, 31
	s_sub_i32 s6, s6, s10
	s_add_i32 s9, s5, 1
	s_sub_i32 s10, s6, s8
	s_cmp_ge_u32 s6, s8
	s_cselect_b32 s5, s9, s5
	s_cselect_b32 s6, s10, s6
	s_add_i32 s9, s5, 1
	s_cmp_ge_u32 s6, s8
	s_cselect_b32 s5, s9, s5
	s_clause 0x1
	s_load_b32 s6, s[0:1], 0x38
	s_load_b256 s[8:15], s[0:1], 0x0
	s_xor_b32 s5, s5, s16
	s_sub_i32 s4, s7, s4
	s_sub_i32 s5, s5, s16
	s_lshl_b32 s22, s22, 1
	s_mul_i32 s2, s5, s2
	s_lshl_b32 s5, s5, 7
	s_sub_i32 s2, s3, s2
	v_add_nc_u32_e32 v41, s5, v40
	s_add_i32 s4, s4, s2
	s_load_b32 s2, s[0:1], 0x70
	s_lshl_b32 s3, s4, 8
	s_clause 0x4
	s_load_b32 s4, s[0:1], 0x80
	s_load_b32 s7, s[0:1], 0x8c
	;; [unrolled: 1-line block ×4, first 2 shown]
	s_load_b64 s[24:25], s[0:1], 0x24
	v_add_nc_u32_e32 v38, s3, v37
	v_or_b32_e32 v139, s3, v180
	s_waitcnt lgkmcnt(0)
	s_delay_alu instid0(VALU_DEP_2) | instskip(SKIP_3) | instid1(VALU_DEP_1)
	v_mad_u64_u32 v[1:2], null, v38, s6, v[13:14]
	s_mov_b32 s16, s8
	s_mov_b32 s17, s9
	s_load_b32 s9, s[0:1], 0xc8
	v_add_nc_u32_e32 v2, s6, v1
	v_mad_u64_u32 v[14:15], null, v41, s4, v[13:14]
	s_lshl_b32 s18, s2, 1
	v_cmp_gt_i32_e64 s3, s7, v41
	s_delay_alu instid0(VALU_DEP_3) | instskip(SKIP_1) | instid1(VALU_DEP_4)
	v_add_nc_u32_e32 v9, s6, v2
	v_lshlrev_b32_e32 v5, 1, v2
	v_lshlrev_b32_e32 v16, 1, v14
	s_delay_alu instid0(VALU_DEP_3)
	v_lshlrev_b32_e32 v10, 1, v9
	v_add_lshl_u32 v15, v9, s6, 1
	v_add_lshl_u32 v14, v14, s4, 1
	s_clause 0x2
	buffer_load_b128 v[5:8], v5, s[16:19], 0 offen
	buffer_load_b128 v[9:12], v10, s[16:19], 0 offen
	;; [unrolled: 1-line block ×3, first 2 shown]
	v_lshlrev_b32_e32 v1, 1, v1
	v_bfe_u32 v15, v0, 1, 3
	v_lshlrev_b32_e32 v42, 5, v0
	buffer_load_b128 v[1:4], v1, s[16:19], 0 offen
	s_lshl_b32 s18, s26, 1
	s_mov_b32 s16, s10
	s_mov_b32 s17, s11
	s_clause 0x1
	buffer_load_b128 v[28:31], v16, s[16:19], 0 offen
	buffer_load_b128 v[32:35], v14, s[16:19], 0 offen
	v_lshlrev_b32_e32 v14, 3, v0
	v_and_b32_e32 v43, 0x80, v0
	v_and_b32_e32 v44, 15, v0
	v_mov_b32_e32 v16, s36
	v_mov_b32_e32 v20, s40
	v_and_or_b32 v0, v14, 8, v15
	v_and_b32_e32 v15, 0x200, v42
	v_and_b32_e32 v45, 0x400, v14
	v_lshlrev_b32_e32 v37, 4, v37
	v_lshlrev_b32_e32 v43, 1, v43
	v_and_b32_e32 v181, 56, v14
	v_and_or_b32 v15, v39, 48, v15
	v_dual_mov_b32 v17, s37 :: v_dual_mov_b32 v22, s42
	v_cmp_gt_i32_e32 vcc_lo, s23, v13
	v_cmp_gt_i32_e64 s2, s21, v13
	s_delay_alu instid0(VALU_DEP_4)
	v_or3_b32 v15, v15, v45, v44
	v_add_nc_u32_e32 v13, 1, v38
	v_and_b32_e32 v39, 0x300, v14
	v_mad_u32_u24 v14, 0x1010, v36, v37
	v_lshl_or_b32 v182, v0, 4, v43
	v_lshlrev_b32_e32 v138, 2, v15
	v_add_nc_u32_e32 v0, 1, v41
	v_add_nc_u32_e32 v15, 2, v38
	;; [unrolled: 1-line block ×3, first 2 shown]
	v_or_b32_e32 v183, s5, v181
	v_cmp_gt_i32_e64 s5, s20, v38
	v_cmp_gt_i32_e64 s6, s20, v13
	;; [unrolled: 1-line block ×5, first 2 shown]
	s_and_b32 s5, vcc_lo, s5
	s_clause 0x1
	s_load_b32 s10, s[0:1], 0x108
	s_load_b32 s26, s[0:1], 0x118
	v_mul_u32_u24_e32 v42, 0x810, v36
	v_dual_mov_b32 v18, s38 :: v_dual_mov_b32 v19, s39
	v_mov_b32_e32 v21, s41
	v_mov_b32_e32 v23, s43
	s_waitcnt lgkmcnt(0)
	v_mad_u64_u32 v[136:137], null, v139, s9, v[183:184]
	v_lshl_add_u32 v36, v40, 4, v42
	s_mov_b32 s16, s12
	s_mov_b32 s17, s13
	v_lshlrev_b32_e32 v137, 2, v181
	s_mov_b32 s23, s19
	s_mov_b32 s20, s14
	s_delay_alu instid0(VALU_DEP_3)
	v_lshlrev_b32_e32 v187, 1, v136
	s_mov_b32 s21, s15
	v_lshl_or_b32 v137, v180, 8, v137
	s_lshl_b32 s18, s10, 1
	s_lshl_b32 s13, s26, 5
	s_waitcnt vmcnt(2)
	v_cndmask_b32_e64 v4, 0, v4, s5
	v_cndmask_b32_e64 v3, 0, v3, s5
	;; [unrolled: 1-line block ×4, first 2 shown]
	s_and_b32 s5, vcc_lo, s6
	s_delay_alu instid0(SALU_CYCLE_1)
	v_cndmask_b32_e64 v8, 0, v8, s5
	v_cndmask_b32_e64 v7, 0, v7, s5
	;; [unrolled: 1-line block ×4, first 2 shown]
	s_and_b32 s5, vcc_lo, s7
	s_and_b32 vcc_lo, vcc_lo, s8
	v_cndmask_b32_e64 v12, 0, v12, s5
	v_dual_cndmask_b32 v27, 0, v27 :: v_dual_cndmask_b32 v26, 0, v26
	v_dual_cndmask_b32 v25, 0, v25 :: v_dual_cndmask_b32 v24, 0, v24
	s_and_b32 vcc_lo, s2, s3
	v_cndmask_b32_e64 v11, 0, v11, s5
	s_waitcnt vmcnt(1)
	v_cndmask_b32_e32 v31, 0, v31, vcc_lo
	v_lshl_or_b32 v44, v44, 4, v39
	v_cndmask_b32_e64 v10, 0, v10, s5
	v_cndmask_b32_e64 v9, 0, v9, s5
	v_dual_cndmask_b32 v30, 0, v30 :: v_dual_cndmask_b32 v29, 0, v29
	v_cndmask_b32_e32 v28, 0, v28, vcc_lo
	s_and_b32 vcc_lo, s2, s4
	s_waitcnt vmcnt(0)
	v_dual_cndmask_b32 v35, 0, v35 :: v_dual_cndmask_b32 v34, 0, v34
	v_dual_cndmask_b32 v33, 0, v33 :: v_dual_cndmask_b32 v32, 0, v32
	ds_store_b128 v14, v[1:4]
	ds_store_b128 v14, v[5:8] offset:16
	ds_store_b128 v14, v[9:12] offset:32
	ds_store_b128 v14, v[24:27] offset:48
	ds_store_b128 v36, v[28:31] offset:16432
	ds_store_b128 v36, v[32:35] offset:16448
	s_waitcnt lgkmcnt(0)
	s_barrier
	ds_load_b128 v[32:35], v44 offset:16432
	ds_load_b128 v[24:27], v44 offset:17456
	;; [unrolled: 1-line block ×8, first 2 shown]
	ds_load_b128 v[140:143], v182
	ds_load_b128 v[148:151], v182 offset:512
	ds_load_b128 v[144:147], v182 offset:4112
	;; [unrolled: 1-line block ×25, first 2 shown]
	s_waitcnt lgkmcnt(23)
	v_wmma_f32_16x16x16_f16 v[172:179], v[140:147], v[32:39], v[16:23]
	ds_load_b128 v[60:63], v182 offset:7184
	ds_load_b128 v[52:55], v182 offset:7696
	;; [unrolled: 1-line block ×6, first 2 shown]
	s_waitcnt lgkmcnt(0)
	v_wmma_f32_16x16x16_f16 v[172:179], v[156:163], v[0:7], v[172:179]
	s_barrier
	ds_store_2addr_stride64_b32 v138, v172, v173 offset1:1
	ds_store_2addr_stride64_b32 v138, v174, v175 offset0:2 offset1:3
	ds_store_2addr_stride64_b32 v138, v176, v177 offset0:4 offset1:5
	;; [unrolled: 1-line block ×3, first 2 shown]
	s_waitcnt lgkmcnt(0)
	s_barrier
	buffer_load_b64 v[176:177], v187, s[16:19], 0 offen
	s_clause 0x1
	s_load_b32 s8, s[0:1], 0xe0
	s_load_b32 s10, s[0:1], 0xd4
	ds_load_b128 v[172:175], v137
	ds_load_b128 v[179:182], v137 offset:16
	s_clause 0x1
	s_load_b32 s12, s[0:1], 0x130
	s_load_b32 s11, s[0:1], 0x124
	s_waitcnt lgkmcnt(0)
	v_cmp_gt_i32_e64 s2, s8, v183
	v_cmp_gt_i32_e64 s4, s10, v139
	;; [unrolled: 1-line block ×4, first 2 shown]
	s_delay_alu instid0(VALU_DEP_3) | instskip(NEXT) | instid1(VALU_DEP_1)
	s_and_b32 vcc_lo, s2, s4
	s_and_b32 s0, s1, s7
	s_waitcnt vmcnt(0)
	v_cndmask_b32_e32 v184, 0, v176, vcc_lo
	v_cndmask_b32_e32 v178, 0, v177, vcc_lo
	s_delay_alu instid0(VALU_DEP_2) | instskip(NEXT) | instid1(VALU_DEP_2)
	v_cvt_f32_f16_e64 v176, v184
	v_cvt_f32_f16_e64 v177, v178
	s_delay_alu instid0(VALU_DEP_1) | instskip(NEXT) | instid1(VALU_DEP_1)
	v_dual_mul_f32 v176, s25, v176 :: v_dual_mul_f32 v177, s25, v177
	v_fma_mixlo_f16 v176, s24, v172, v176
	v_lshrrev_b32_e32 v172, 16, v178
	s_delay_alu instid0(VALU_DEP_3) | instskip(SKIP_2) | instid1(VALU_DEP_4)
	v_fma_mixlo_f16 v177, s24, v174, v177
	v_lshrrev_b32_e32 v174, 16, v184
	v_mad_u64_u32 v[184:185], null, v139, s26, v[183:184]
	v_cvt_f32_f16_e64 v172, v172
	s_delay_alu instid0(VALU_DEP_3) | instskip(NEXT) | instid1(VALU_DEP_2)
	v_cvt_f32_f16_e64 v174, v174
	v_mul_f32_e32 v172, s25, v172
	s_delay_alu instid0(VALU_DEP_4) | instskip(NEXT) | instid1(VALU_DEP_3)
	v_lshlrev_b32_e32 v188, 1, v184
	v_mul_f32_e32 v174, s25, v174
	s_delay_alu instid0(VALU_DEP_3) | instskip(SKIP_1) | instid1(VALU_DEP_3)
	v_fma_mixhi_f16 v177, s24, v175, v172
	v_cndmask_b32_e64 v172, 0x80000000, 0, s0
	v_fma_mixhi_f16 v176, s24, v173, v174
	v_or_b32_e32 v174, 4, v183
	s_delay_alu instid0(VALU_DEP_3) | instskip(NEXT) | instid1(VALU_DEP_2)
	v_add_nc_u32_e32 v172, v172, v188
	v_cmp_gt_i32_e64 s0, s8, v174
	buffer_store_b64 v[176:177], v172, s[20:23], 0 offen
	buffer_load_b64 v[172:173], v187, s[16:19], 0 offen offset:8
	s_and_b32 vcc_lo, s4, s0
	s_waitcnt vmcnt(0)
	v_dual_cndmask_b32 v173, 0, v173 :: v_dual_cndmask_b32 v172, 0, v172
	v_cmp_gt_i32_e32 vcc_lo, s12, v174
	s_delay_alu instid0(VALU_DEP_2) | instskip(SKIP_1) | instid1(VALU_DEP_4)
	v_cvt_f32_f16_e64 v175, v173
	v_lshrrev_b32_e32 v173, 16, v173
	v_cvt_f32_f16_e64 v176, v172
	v_lshrrev_b32_e32 v172, 16, v172
	s_and_b32 s3, s7, vcc_lo
	v_mul_f32_e32 v175, s25, v175
	v_cvt_f32_f16_e64 v173, v173
	v_mul_f32_e32 v176, s25, v176
	v_cvt_f32_f16_e64 v172, v172
	s_delay_alu instid0(VALU_DEP_4) | instskip(NEXT) | instid1(VALU_DEP_4)
	v_fma_mixlo_f16 v186, s24, v181, v175
	v_mul_f32_e32 v173, s25, v173
	s_delay_alu instid0(VALU_DEP_4) | instskip(SKIP_2) | instid1(VALU_DEP_4)
	v_fma_mixlo_f16 v185, s24, v179, v176
	v_cndmask_b32_e64 v181, 0x80000000, 0, s3
	v_mul_f32_e32 v189, s25, v172
	v_fma_mixhi_f16 v186, s24, v182, v173
	v_add_nc_u32_e32 v182, 64, v136
	v_wmma_f32_16x16x16_f16 v[172:179], v[140:147], v[24:31], v[16:23]
	v_add_nc_u32_e32 v140, v188, v181
	v_fma_mixhi_f16 v185, s24, v180, v189
	s_delay_alu instid0(VALU_DEP_4) | instskip(NEXT) | instid1(VALU_DEP_4)
	v_lshlrev_b32_e32 v141, 1, v182
	v_wmma_f32_16x16x16_f16 v[172:179], v[156:163], v[40:47], v[172:179]
	v_or_b32_e32 v146, 64, v183
	v_add_nc_u32_e32 v162, 64, v184
	buffer_store_b64 v[185:186], v140, s[20:23], 0 offen offset:8
	s_waitcnt lgkmcnt(0)
	s_waitcnt_vscnt null, 0x0
	s_barrier
	ds_store_2addr_stride64_b32 v138, v172, v173 offset1:1
	ds_store_2addr_stride64_b32 v138, v174, v175 offset0:2 offset1:3
	ds_store_2addr_stride64_b32 v138, v176, v177 offset0:4 offset1:5
	;; [unrolled: 1-line block ×3, first 2 shown]
	s_waitcnt lgkmcnt(0)
	s_barrier
	buffer_load_b64 v[144:145], v141, s[16:19], 0 offen
	v_cmp_gt_i32_e64 s3, s8, v146
	ds_load_b128 v[140:143], v137
	v_cmp_gt_i32_e64 s5, s12, v146
	s_and_b32 s6, s4, s3
	s_waitcnt vmcnt(0)
	v_cndmask_b32_e64 v144, 0, v144, s6
	v_cndmask_b32_e64 v145, 0, v145, s6
	s_and_b32 s6, s7, s5
	s_delay_alu instid0(SALU_CYCLE_1) | instskip(NEXT) | instid1(VALU_DEP_3)
	v_cndmask_b32_e64 v146, 0x80000000, 0, s6
	v_cvt_f32_f16_e64 v147, v144
	s_delay_alu instid0(VALU_DEP_3) | instskip(SKIP_3) | instid1(VALU_DEP_4)
	v_cvt_f32_f16_e64 v156, v145
	v_lshrrev_b32_e32 v145, 16, v145
	v_lshrrev_b32_e32 v144, 16, v144
	v_lshl_add_u32 v146, v162, 1, v146
	v_dual_mul_f32 v147, s25, v147 :: v_dual_mul_f32 v160, s25, v156
	s_delay_alu instid0(VALU_DEP_4) | instskip(NEXT) | instid1(VALU_DEP_4)
	v_cvt_f32_f16_e64 v161, v145
	v_cvt_f32_f16_e64 v163, v144
	ds_load_b128 v[156:159], v137 offset:16
	s_waitcnt lgkmcnt(1)
	v_fma_mixlo_f16 v144, s24, v140, v147
	v_fma_mixlo_f16 v145, s24, v142, v160
	v_mul_f32_e32 v140, s25, v161
	v_mul_f32_e32 v142, s25, v163
	v_add_lshl_u32 v162, v162, s13, 1
	s_delay_alu instid0(VALU_DEP_3) | instskip(NEXT) | instid1(VALU_DEP_3)
	v_fma_mixhi_f16 v145, s24, v143, v140
	v_fma_mixhi_f16 v144, s24, v141, v142
	v_or_b32_e32 v142, 0x44, v183
	buffer_store_b64 v[144:145], v146, s[20:23], 0 offen
	buffer_load_b64 v[140:141], v187, s[16:19], 0 offen offset:136
	v_cmp_gt_i32_e64 s6, s8, v142
	s_delay_alu instid0(VALU_DEP_1)
	s_and_b32 s4, s4, s6
	s_waitcnt vmcnt(0)
	v_cndmask_b32_e64 v140, 0, v140, s4
	v_cndmask_b32_e64 v141, 0, v141, s4
	v_cmp_gt_i32_e64 s4, s12, v142
	s_lshl_b32 s12, s9, 5
	s_delay_alu instid0(VALU_DEP_3) | instskip(NEXT) | instid1(VALU_DEP_3)
	v_cvt_f32_f16_e64 v143, v140
	v_cvt_f32_f16_e64 v144, v141
	v_lshrrev_b32_e32 v141, 16, v141
	v_lshrrev_b32_e32 v140, 16, v140
	s_and_b32 s7, s7, s4
	s_delay_alu instid0(VALU_DEP_3) | instskip(NEXT) | instid1(VALU_DEP_3)
	v_dual_mul_f32 v142, s25, v143 :: v_dual_mul_f32 v143, s25, v144
	v_cvt_f32_f16_e64 v141, v141
	s_delay_alu instid0(VALU_DEP_3)
	v_cvt_f32_f16_e64 v140, v140
	v_cndmask_b32_e64 v144, 0x80000000, 0, s7
	s_waitcnt lgkmcnt(0)
	v_fma_mixlo_f16 v160, s24, v156, v142
	v_fma_mixlo_f16 v161, s24, v158, v143
	v_mul_f32_e32 v156, s25, v141
	v_mul_f32_e32 v158, s25, v140
	v_add_nc_u32_e32 v163, v188, v144
	v_wmma_f32_16x16x16_f16 v[140:147], v[148:155], v[24:31], v[16:23]
	s_delay_alu instid0(VALU_DEP_4) | instskip(NEXT) | instid1(VALU_DEP_4)
	v_fma_mixhi_f16 v161, s24, v159, v156
	v_fma_mixhi_f16 v160, s24, v157, v158
	v_add_lshl_u32 v172, v182, s12, 1
	s_delay_alu instid0(VALU_DEP_4)
	v_wmma_f32_16x16x16_f16 v[140:147], v[164:171], v[40:47], v[140:147]
	v_add_nc_u32_e32 v136, s12, v136
	buffer_store_b64 v[160:161], v163, s[20:23], 0 offen offset:136
	s_waitcnt lgkmcnt(0)
	s_waitcnt_vscnt null, 0x0
	s_barrier
	ds_store_2addr_stride64_b32 v138, v140, v141 offset1:1
	ds_store_2addr_stride64_b32 v138, v142, v143 offset0:2 offset1:3
	ds_store_2addr_stride64_b32 v138, v144, v145 offset0:4 offset1:5
	;; [unrolled: 1-line block ×3, first 2 shown]
	s_waitcnt lgkmcnt(0)
	s_barrier
	buffer_load_b64 v[144:145], v172, s[16:19], 0 offen
	v_or_b32_e32 v146, 32, v139
	ds_load_b128 v[140:143], v137
	v_cmp_gt_i32_e64 s7, s10, v146
	v_cmp_gt_i32_e64 s8, s11, v146
	s_delay_alu instid0(VALU_DEP_2) | instskip(SKIP_4) | instid1(SALU_CYCLE_1)
	s_and_b32 s9, s3, s7
	s_waitcnt vmcnt(0)
	v_cndmask_b32_e64 v144, 0, v144, s9
	v_cndmask_b32_e64 v145, 0, v145, s9
	s_and_b32 s9, s5, s8
	v_cndmask_b32_e64 v146, 0x80000000, 0, s9
	s_delay_alu instid0(VALU_DEP_3) | instskip(NEXT) | instid1(VALU_DEP_3)
	v_cvt_f32_f16_e64 v147, v144
	v_cvt_f32_f16_e64 v156, v145
	v_lshrrev_b32_e32 v145, 16, v145
	v_lshrrev_b32_e32 v144, 16, v144
	s_delay_alu instid0(VALU_DEP_4) | instskip(NEXT) | instid1(VALU_DEP_4)
	v_dual_mul_f32 v147, s25, v147 :: v_dual_add_nc_u32 v146, v162, v146
	v_mul_f32_e32 v160, s25, v156
	s_delay_alu instid0(VALU_DEP_4) | instskip(NEXT) | instid1(VALU_DEP_4)
	v_cvt_f32_f16_e64 v161, v145
	v_cvt_f32_f16_e64 v163, v144
	ds_load_b128 v[156:159], v137 offset:16
	s_waitcnt lgkmcnt(1)
	v_fma_mixlo_f16 v144, s24, v140, v147
	v_fma_mixlo_f16 v145, s24, v142, v160
	v_mul_f32_e32 v140, s25, v161
	v_mul_f32_e32 v142, s25, v163
	s_and_b32 s9, s6, s7
	s_delay_alu instid0(VALU_DEP_2) | instskip(NEXT) | instid1(VALU_DEP_2)
	v_fma_mixhi_f16 v145, s24, v143, v140
	v_fma_mixhi_f16 v144, s24, v141, v142
	buffer_store_b64 v[144:145], v146, s[20:23], 0 offen
	buffer_load_b64 v[140:141], v172, s[16:19], 0 offen offset:8
	s_waitcnt vmcnt(0)
	v_cndmask_b32_e64 v140, 0, v140, s9
	v_cndmask_b32_e64 v141, 0, v141, s9
	s_and_b32 s9, s4, s8
	s_delay_alu instid0(SALU_CYCLE_1) | instskip(NEXT) | instid1(VALU_DEP_3)
	v_cndmask_b32_e64 v144, 0x80000008, 8, s9
	v_cvt_f32_f16_e64 v142, v140
	s_delay_alu instid0(VALU_DEP_3) | instskip(SKIP_3) | instid1(VALU_DEP_4)
	v_cvt_f32_f16_e64 v143, v141
	v_lshrrev_b32_e32 v141, 16, v141
	v_lshrrev_b32_e32 v140, 16, v140
	v_add_nc_u32_e32 v162, v144, v162
	v_dual_mul_f32 v142, s25, v142 :: v_dual_mul_f32 v143, s25, v143
	s_delay_alu instid0(VALU_DEP_4) | instskip(NEXT) | instid1(VALU_DEP_4)
	v_cvt_f32_f16_e64 v141, v141
	v_cvt_f32_f16_e64 v140, v140
	s_and_b32 s9, s2, s7
	s_waitcnt lgkmcnt(0)
	v_fma_mixlo_f16 v160, s24, v156, v142
	v_fma_mixlo_f16 v161, s24, v158, v143
	v_mul_f32_e32 v156, s25, v141
	v_mul_f32_e32 v158, s25, v140
	v_wmma_f32_16x16x16_f16 v[140:147], v[148:155], v[32:39], v[16:23]
	v_lshlrev_b32_e32 v151, 1, v136
	v_add_nc_u32_e32 v153, s13, v184
	v_fma_mixhi_f16 v161, s24, v159, v156
	v_fma_mixhi_f16 v160, s24, v157, v158
	v_wmma_f32_16x16x16_f16 v[140:147], v[164:171], v[0:7], v[140:147]
	s_and_b32 s7, s0, s7
	v_lshlrev_b32_e32 v154, 1, v153
	v_add_nc_u32_e32 v153, s13, v153
	buffer_store_b64 v[160:161], v162, s[20:23], 0 offen
	s_waitcnt lgkmcnt(0)
	s_waitcnt_vscnt null, 0x0
	s_barrier
	ds_store_2addr_stride64_b32 v138, v140, v141 offset1:1
	ds_store_2addr_stride64_b32 v138, v142, v143 offset0:2 offset1:3
	ds_store_2addr_stride64_b32 v138, v144, v145 offset0:4 offset1:5
	;; [unrolled: 1-line block ×3, first 2 shown]
	s_waitcnt lgkmcnt(0)
	s_barrier
	buffer_load_b64 v[144:145], v151, s[16:19], 0 offen
	ds_load_b128 v[140:143], v137
	s_waitcnt vmcnt(0)
	v_cndmask_b32_e64 v144, 0, v144, s9
	v_cndmask_b32_e64 v145, 0, v145, s9
	s_and_b32 s9, s1, s8
	s_delay_alu instid0(SALU_CYCLE_1) | instskip(NEXT) | instid1(VALU_DEP_3)
	v_cndmask_b32_e64 v146, 0x80000000, 0, s9
	v_cvt_f32_f16_e64 v147, v144
	s_delay_alu instid0(VALU_DEP_3) | instskip(SKIP_3) | instid1(VALU_DEP_4)
	v_cvt_f32_f16_e64 v148, v145
	v_lshrrev_b32_e32 v145, 16, v145
	v_lshrrev_b32_e32 v144, 16, v144
	v_add_nc_u32_e32 v146, v146, v154
	v_dual_mul_f32 v152, s25, v147 :: v_dual_mul_f32 v155, s25, v148
	s_delay_alu instid0(VALU_DEP_4) | instskip(NEXT) | instid1(VALU_DEP_4)
	v_cvt_f32_f16_e64 v156, v145
	v_cvt_f32_f16_e64 v157, v144
	ds_load_b128 v[147:150], v137 offset:16
	s_waitcnt lgkmcnt(1)
	v_fma_mixlo_f16 v144, s24, v140, v152
	v_fma_mixlo_f16 v145, s24, v142, v155
	v_mul_f32_e32 v140, s25, v156
	v_mul_f32_e32 v142, s25, v157
	s_delay_alu instid0(VALU_DEP_2) | instskip(NEXT) | instid1(VALU_DEP_2)
	v_fma_mixhi_f16 v145, s24, v143, v140
	v_fma_mixhi_f16 v144, s24, v141, v142
	buffer_store_b64 v[144:145], v146, s[20:23], 0 offen
	buffer_load_b64 v[140:141], v151, s[16:19], 0 offen offset:8
	s_waitcnt vmcnt(0)
	v_cndmask_b32_e64 v140, 0, v140, s7
	v_cndmask_b32_e64 v141, 0, v141, s7
	s_and_b32 s7, vcc_lo, s8
	s_delay_alu instid0(SALU_CYCLE_1) | instskip(NEXT) | instid1(VALU_DEP_3)
	v_cndmask_b32_e64 v144, 0x80000000, 0, s7
	v_cvt_f32_f16_e64 v143, v140
	v_lshrrev_b32_e32 v140, 16, v140
	v_cvt_f32_f16_e64 v142, v141
	v_lshrrev_b32_e32 v141, 16, v141
	s_delay_alu instid0(VALU_DEP_4) | instskip(NEXT) | instid1(VALU_DEP_4)
	v_mul_f32_e32 v143, s25, v143
	v_cvt_f32_f16_e64 v140, v140
	s_delay_alu instid0(VALU_DEP_4) | instskip(NEXT) | instid1(VALU_DEP_4)
	v_mul_f32_e32 v142, s25, v142
	v_cvt_f32_f16_e64 v141, v141
	v_add_nc_u32_e32 v136, s12, v136
	s_waitcnt lgkmcnt(0)
	v_fma_mixlo_f16 v151, s24, v147, v143
	v_mul_f32_e32 v155, s25, v140
	v_add_nc_u32_e32 v154, v154, v144
	s_delay_alu instid0(VALU_DEP_2) | instskip(SKIP_4) | instid1(VALU_DEP_2)
	v_fma_mixhi_f16 v151, s24, v148, v155
	v_lshlrev_b32_e32 v155, 1, v136
	v_fma_mixlo_f16 v152, s24, v149, v142
	v_mul_f32_e32 v149, s25, v141
	v_wmma_f32_16x16x16_f16 v[140:147], v[120:127], v[32:39], v[16:23]
	v_fma_mixhi_f16 v152, s24, v150, v149
	s_delay_alu instid0(VALU_DEP_2)
	v_wmma_f32_16x16x16_f16 v[140:147], v[128:135], v[0:7], v[140:147]
	buffer_store_b64 v[151:152], v154, s[20:23], 0 offen offset:8
	s_waitcnt lgkmcnt(0)
	s_waitcnt_vscnt null, 0x0
	s_barrier
	ds_store_2addr_stride64_b32 v138, v140, v141 offset1:1
	ds_store_2addr_stride64_b32 v138, v142, v143 offset0:2 offset1:3
	ds_store_2addr_stride64_b32 v138, v144, v145 offset0:4 offset1:5
	;; [unrolled: 1-line block ×3, first 2 shown]
	s_waitcnt lgkmcnt(0)
	s_barrier
	buffer_load_b64 v[144:145], v155, s[16:19], 0 offen
	v_or_b32_e32 v146, 64, v139
	ds_load_b128 v[140:143], v137
	v_lshlrev_b32_e32 v154, 1, v153
	v_cmp_gt_i32_e64 s8, s10, v146
	v_cmp_gt_i32_e64 s7, s11, v146
	s_delay_alu instid0(VALU_DEP_2) | instskip(SKIP_4) | instid1(SALU_CYCLE_1)
	s_and_b32 s9, s2, s8
	s_waitcnt vmcnt(0)
	v_cndmask_b32_e64 v144, 0, v144, s9
	v_cndmask_b32_e64 v145, 0, v145, s9
	s_and_b32 s9, s1, s7
	v_cndmask_b32_e64 v146, 0x80000000, 0, s9
	s_delay_alu instid0(VALU_DEP_3) | instskip(NEXT) | instid1(VALU_DEP_3)
	v_cvt_f32_f16_e64 v147, v144
	v_cvt_f32_f16_e64 v148, v145
	v_lshrrev_b32_e32 v145, 16, v145
	v_lshrrev_b32_e32 v144, 16, v144
	s_delay_alu instid0(VALU_DEP_4) | instskip(NEXT) | instid1(VALU_DEP_4)
	v_dual_mul_f32 v151, s25, v147 :: v_dual_add_nc_u32 v146, v154, v146
	v_mul_f32_e32 v152, s25, v148
	s_delay_alu instid0(VALU_DEP_4) | instskip(NEXT) | instid1(VALU_DEP_4)
	v_cvt_f32_f16_e64 v156, v145
	v_cvt_f32_f16_e64 v157, v144
	ds_load_b128 v[147:150], v137 offset:16
	s_waitcnt lgkmcnt(1)
	v_fma_mixlo_f16 v144, s24, v140, v151
	v_fma_mixlo_f16 v145, s24, v142, v152
	v_mul_f32_e32 v140, s25, v156
	v_mul_f32_e32 v142, s25, v157
	s_and_b32 s9, s0, s8
	v_add_nc_u32_e32 v156, 64, v136
	s_delay_alu instid0(VALU_DEP_3) | instskip(NEXT) | instid1(VALU_DEP_3)
	v_fma_mixhi_f16 v145, s24, v143, v140
	v_fma_mixhi_f16 v144, s24, v141, v142
	buffer_store_b64 v[144:145], v146, s[20:23], 0 offen
	buffer_load_b64 v[140:141], v155, s[16:19], 0 offen offset:8
	s_waitcnt vmcnt(0)
	v_cndmask_b32_e64 v140, 0, v140, s9
	v_cndmask_b32_e64 v141, 0, v141, s9
	s_and_b32 s9, vcc_lo, s7
	s_delay_alu instid0(SALU_CYCLE_1) | instskip(NEXT) | instid1(VALU_DEP_3)
	v_cndmask_b32_e64 v144, 0x80000008, 8, s9
	v_cvt_f32_f16_e64 v142, v140
	s_delay_alu instid0(VALU_DEP_3) | instskip(SKIP_3) | instid1(VALU_DEP_3)
	v_cvt_f32_f16_e64 v143, v141
	v_lshrrev_b32_e32 v141, 16, v141
	v_lshrrev_b32_e32 v140, 16, v140
	s_and_b32 s9, s3, s8
	v_dual_mul_f32 v142, s25, v142 :: v_dual_mul_f32 v143, s25, v143
	s_delay_alu instid0(VALU_DEP_3) | instskip(NEXT) | instid1(VALU_DEP_3)
	v_cvt_f32_f16_e64 v141, v141
	v_cvt_f32_f16_e64 v140, v140
	s_and_b32 s8, s6, s8
	s_waitcnt lgkmcnt(0)
	v_fma_mixlo_f16 v151, s24, v147, v142
	v_fma_mixlo_f16 v152, s24, v149, v143
	v_mul_f32_e32 v149, s25, v141
	v_dual_mul_f32 v157, s25, v140 :: v_dual_add_nc_u32 v158, v144, v154
	v_wmma_f32_16x16x16_f16 v[140:147], v[120:127], v[24:31], v[16:23]
	s_delay_alu instid0(VALU_DEP_3) | instskip(NEXT) | instid1(VALU_DEP_3)
	v_fma_mixhi_f16 v152, s24, v150, v149
	v_fma_mixhi_f16 v151, s24, v148, v157
	v_lshlrev_b32_e32 v120, 1, v156
	s_delay_alu instid0(VALU_DEP_4)
	v_wmma_f32_16x16x16_f16 v[140:147], v[128:135], v[40:47], v[140:147]
	v_add_nc_u32_e32 v134, 64, v153
	buffer_store_b64 v[151:152], v158, s[20:23], 0 offen
	s_waitcnt lgkmcnt(0)
	s_waitcnt_vscnt null, 0x0
	s_barrier
	ds_store_2addr_stride64_b32 v138, v140, v141 offset1:1
	ds_store_2addr_stride64_b32 v138, v142, v143 offset0:2 offset1:3
	ds_store_2addr_stride64_b32 v138, v144, v145 offset0:4 offset1:5
	;; [unrolled: 1-line block ×3, first 2 shown]
	s_waitcnt lgkmcnt(0)
	s_barrier
	buffer_load_b64 v[124:125], v120, s[16:19], 0 offen
	ds_load_b128 v[120:123], v137
	s_waitcnt vmcnt(0)
	v_cndmask_b32_e64 v124, 0, v124, s9
	v_cndmask_b32_e64 v125, 0, v125, s9
	s_and_b32 s9, s5, s7
	s_and_b32 s7, s4, s7
	v_cndmask_b32_e64 v126, 0x80000000, 0, s9
	v_cvt_f32_f16_e32 v127, v124
	v_cvt_f32_f16_e64 v128, v125
	v_lshrrev_b32_e32 v125, 16, v125
	v_lshrrev_b32_e32 v124, 16, v124
	v_lshl_add_u32 v126, v134, 1, v126
	s_delay_alu instid0(VALU_DEP_4) | instskip(NEXT) | instid1(VALU_DEP_4)
	v_dual_mul_f32 v127, s25, v127 :: v_dual_mul_f32 v132, s25, v128
	v_cvt_f32_f16_e64 v133, v125
	s_delay_alu instid0(VALU_DEP_4)
	v_cvt_f32_f16_e64 v135, v124
	ds_load_b128 v[128:131], v137 offset:16
	s_waitcnt lgkmcnt(1)
	v_fma_mixlo_f16 v124, s24, v120, v127
	v_fma_mixlo_f16 v125, s24, v122, v132
	v_mul_f32_e32 v120, s25, v133
	v_mul_f32_e32 v122, s25, v135
	v_add_lshl_u32 v134, v134, s13, 1
	s_delay_alu instid0(VALU_DEP_3) | instskip(NEXT) | instid1(VALU_DEP_3)
	v_fma_mixhi_f16 v125, s24, v123, v120
	v_fma_mixhi_f16 v124, s24, v121, v122
	buffer_store_b64 v[124:125], v126, s[20:23], 0 offen
	buffer_load_b64 v[120:121], v155, s[16:19], 0 offen offset:136
	s_waitcnt vmcnt(0)
	v_cndmask_b32_e64 v120, 0, v120, s8
	v_cndmask_b32_e64 v121, 0, v121, s8
	s_delay_alu instid0(VALU_DEP_2) | instskip(NEXT) | instid1(VALU_DEP_2)
	v_cvt_f32_f16_e32 v122, v120
	v_cvt_f32_f16_e32 v123, v121
	v_lshrrev_b32_e32 v121, 16, v121
	v_lshrrev_b32_e32 v124, 16, v120
	v_mov_b32_e32 v120, 0x88
	s_delay_alu instid0(VALU_DEP_4) | instskip(NEXT) | instid1(VALU_DEP_4)
	v_dual_mul_f32 v122, s25, v122 :: v_dual_mul_f32 v123, s25, v123
	v_cvt_f32_f16_e32 v121, v121
	s_delay_alu instid0(VALU_DEP_4) | instskip(NEXT) | instid1(VALU_DEP_4)
	v_cvt_f32_f16_e32 v124, v124
	v_cndmask_b32_e64 v125, 0x80000088, v120, s7
	s_waitcnt lgkmcnt(0)
	v_fma_mixlo_f16 v132, s24, v128, v122
	v_fma_mixlo_f16 v133, s24, v130, v123
	v_dual_mul_f32 v130, s25, v121 :: v_dual_mul_f32 v135, s25, v124
	v_add_nc_u32_e32 v140, v125, v154
	v_wmma_f32_16x16x16_f16 v[121:128], v[104:111], v[24:31], v[16:23]
	s_delay_alu instid0(VALU_DEP_3) | instskip(NEXT) | instid1(VALU_DEP_4)
	v_fma_mixhi_f16 v133, s24, v131, v130
	v_fma_mixhi_f16 v132, s24, v129, v135
	v_add_lshl_u32 v135, v156, s12, 1
	s_delay_alu instid0(VALU_DEP_4)
	v_wmma_f32_16x16x16_f16 v[121:128], v[112:119], v[40:47], v[121:128]
	buffer_store_b64 v[132:133], v140, s[20:23], 0 offen
	s_waitcnt lgkmcnt(0)
	s_waitcnt_vscnt null, 0x0
	s_barrier
	ds_store_2addr_stride64_b32 v138, v121, v122 offset1:1
	ds_store_2addr_stride64_b32 v138, v123, v124 offset0:2 offset1:3
	ds_store_2addr_stride64_b32 v138, v125, v126 offset0:4 offset1:5
	;; [unrolled: 1-line block ×3, first 2 shown]
	s_waitcnt lgkmcnt(0)
	s_barrier
	buffer_load_b64 v[125:126], v135, s[16:19], 0 offen
	v_or_b32_e32 v127, 0x60, v139
	ds_load_b128 v[121:124], v137
	v_cmp_gt_i32_e64 s8, s10, v127
	v_cmp_gt_i32_e64 s7, s11, v127
	s_delay_alu instid0(VALU_DEP_2) | instskip(SKIP_4) | instid1(SALU_CYCLE_1)
	s_and_b32 s9, s3, s8
	s_waitcnt vmcnt(0)
	v_cndmask_b32_e64 v125, 0, v125, s9
	v_cndmask_b32_e64 v126, 0, v126, s9
	s_and_b32 s9, s5, s7
	v_cndmask_b32_e64 v127, 0x80000000, 0, s9
	s_delay_alu instid0(VALU_DEP_3) | instskip(NEXT) | instid1(VALU_DEP_3)
	v_cvt_f32_f16_e64 v128, v125
	v_cvt_f32_f16_e64 v129, v126
	v_lshrrev_b32_e32 v126, 16, v126
	v_lshrrev_b32_e32 v125, 16, v125
	s_delay_alu instid0(VALU_DEP_4) | instskip(NEXT) | instid1(VALU_DEP_4)
	v_dual_mul_f32 v132, s25, v128 :: v_dual_add_nc_u32 v127, v134, v127
	v_mul_f32_e32 v133, s25, v129
	s_delay_alu instid0(VALU_DEP_4) | instskip(NEXT) | instid1(VALU_DEP_4)
	v_cvt_f32_f16_e64 v140, v126
	v_cvt_f32_f16_e64 v141, v125
	ds_load_b128 v[128:131], v137 offset:16
	s_waitcnt lgkmcnt(1)
	v_fma_mixlo_f16 v125, s24, v121, v132
	v_fma_mixlo_f16 v126, s24, v123, v133
	v_mul_f32_e32 v121, s25, v140
	v_mul_f32_e32 v123, s25, v141
	s_and_b32 s9, s6, s8
	s_delay_alu instid0(VALU_DEP_2) | instskip(NEXT) | instid1(VALU_DEP_2)
	v_fma_mixhi_f16 v126, s24, v124, v121
	v_fma_mixhi_f16 v125, s24, v122, v123
	buffer_store_b64 v[125:126], v127, s[20:23], 0 offen
	buffer_load_b64 v[121:122], v135, s[16:19], 0 offen offset:8
	v_add_nc_u32_e32 v135, s12, v136
	s_waitcnt vmcnt(0)
	v_cndmask_b32_e64 v121, 0, v121, s9
	v_cndmask_b32_e64 v122, 0, v122, s9
	s_and_b32 s9, s4, s7
	s_delay_alu instid0(SALU_CYCLE_1) | instskip(NEXT) | instid1(VALU_DEP_3)
	v_cndmask_b32_e64 v125, 0x80000008, 8, s9
	v_cvt_f32_f16_e32 v123, v121
	s_delay_alu instid0(VALU_DEP_3) | instskip(SKIP_2) | instid1(VALU_DEP_4)
	v_cvt_f32_f16_e32 v124, v122
	v_lshrrev_b32_e32 v122, 16, v122
	v_lshrrev_b32_e32 v121, 16, v121
	v_dual_mul_f32 v123, s25, v123 :: v_dual_add_nc_u32 v134, v125, v134
	s_delay_alu instid0(VALU_DEP_4) | instskip(NEXT) | instid1(VALU_DEP_4)
	v_mul_f32_e32 v124, s25, v124
	v_cvt_f32_f16_e32 v122, v122
	s_delay_alu instid0(VALU_DEP_4)
	v_cvt_f32_f16_e32 v121, v121
	s_and_b32 s9, s2, s8
	s_waitcnt lgkmcnt(0)
	v_fma_mixlo_f16 v132, s24, v128, v123
	v_fma_mixlo_f16 v133, s24, v130, v124
	v_mul_f32_e32 v130, s25, v122
	v_mul_f32_e32 v136, s25, v121
	v_wmma_f32_16x16x16_f16 v[121:128], v[104:111], v[32:39], v[16:23]
	v_lshlrev_b32_e32 v110, 1, v135
	s_delay_alu instid0(VALU_DEP_4) | instskip(NEXT) | instid1(VALU_DEP_4)
	v_fma_mixhi_f16 v133, s24, v131, v130
	v_fma_mixhi_f16 v132, s24, v129, v136
	s_delay_alu instid0(VALU_DEP_4)
	v_wmma_f32_16x16x16_f16 v[121:128], v[112:119], v[0:7], v[121:128]
	v_add_nc_u32_e32 v117, s13, v153
	s_and_b32 s8, s0, s8
	buffer_store_b64 v[132:133], v134, s[20:23], 0 offen
	s_waitcnt lgkmcnt(0)
	s_waitcnt_vscnt null, 0x0
	s_barrier
	ds_store_2addr_stride64_b32 v138, v121, v122 offset1:1
	ds_store_2addr_stride64_b32 v138, v123, v124 offset0:2 offset1:3
	ds_store_2addr_stride64_b32 v138, v125, v126 offset0:4 offset1:5
	;; [unrolled: 1-line block ×3, first 2 shown]
	s_waitcnt lgkmcnt(0)
	s_barrier
	buffer_load_b64 v[108:109], v110, s[16:19], 0 offen
	ds_load_b128 v[104:107], v137
	v_lshlrev_b32_e32 v118, 1, v117
	v_add_nc_u32_e32 v117, s13, v117
	s_waitcnt vmcnt(0)
	v_cndmask_b32_e64 v108, 0, v108, s9
	v_cndmask_b32_e64 v109, 0, v109, s9
	s_and_b32 s9, s1, s7
	s_and_b32 s7, vcc_lo, s7
	v_cndmask_b32_e64 v115, 0x80000000, 0, s9
	v_cvt_f32_f16_e32 v111, v108
	v_cvt_f32_f16_e32 v112, v109
	v_lshrrev_b32_e32 v109, 16, v109
	v_lshrrev_b32_e32 v108, 16, v108
	v_add_nc_u32_e32 v115, v118, v115
	s_delay_alu instid0(VALU_DEP_4) | instskip(NEXT) | instid1(VALU_DEP_4)
	v_dual_mul_f32 v116, s25, v111 :: v_dual_mul_f32 v119, s25, v112
	v_cvt_f32_f16_e32 v121, v109
	s_delay_alu instid0(VALU_DEP_4)
	v_cvt_f32_f16_e32 v122, v108
	ds_load_b128 v[111:114], v137 offset:16
	s_waitcnt lgkmcnt(1)
	v_fma_mixlo_f16 v108, s24, v104, v116
	v_fma_mixlo_f16 v109, s24, v106, v119
	v_mul_f32_e32 v104, s25, v121
	v_dual_mul_f32 v106, s25, v122 :: v_dual_add_nc_u32 v119, s12, v135
	s_delay_alu instid0(VALU_DEP_2) | instskip(NEXT) | instid1(VALU_DEP_2)
	v_fma_mixhi_f16 v109, s24, v107, v104
	v_fma_mixhi_f16 v108, s24, v105, v106
	buffer_store_b64 v[108:109], v115, s[20:23], 0 offen
	buffer_load_b64 v[104:105], v110, s[16:19], 0 offen offset:8
	v_cndmask_b32_e64 v108, 0x80000008, 8, s7
	s_delay_alu instid0(VALU_DEP_1) | instskip(SKIP_3) | instid1(VALU_DEP_2)
	v_add_nc_u32_e32 v118, v108, v118
	s_waitcnt vmcnt(0)
	v_cndmask_b32_e64 v104, 0, v104, s8
	v_cndmask_b32_e64 v105, 0, v105, s8
	v_cvt_f32_f16_e32 v106, v104
	s_delay_alu instid0(VALU_DEP_2) | instskip(SKIP_2) | instid1(VALU_DEP_3)
	v_cvt_f32_f16_e32 v107, v105
	v_lshrrev_b32_e32 v105, 16, v105
	v_lshrrev_b32_e32 v104, 16, v104
	v_dual_mul_f32 v106, s25, v106 :: v_dual_mul_f32 v107, s25, v107
	s_delay_alu instid0(VALU_DEP_3) | instskip(NEXT) | instid1(VALU_DEP_3)
	v_cvt_f32_f16_e32 v105, v105
	v_cvt_f32_f16_e32 v104, v104
	s_waitcnt lgkmcnt(0)
	s_delay_alu instid0(VALU_DEP_3) | instskip(SKIP_4) | instid1(VALU_DEP_3)
	v_fma_mixlo_f16 v115, s24, v111, v106
	v_fma_mixlo_f16 v116, s24, v113, v107
	v_mul_f32_e32 v113, s25, v105
	v_mul_f32_e32 v121, s25, v104
	v_wmma_f32_16x16x16_f16 v[104:111], v[88:95], v[32:39], v[16:23]
	v_fma_mixhi_f16 v116, s24, v114, v113
	s_delay_alu instid0(VALU_DEP_3) | instskip(NEXT) | instid1(VALU_DEP_3)
	v_fma_mixhi_f16 v115, s24, v112, v121
	v_wmma_f32_16x16x16_f16 v[104:111], v[96:103], v[0:7], v[104:111]
	v_lshlrev_b32_e32 v121, 1, v119
	buffer_store_b64 v[115:116], v118, s[20:23], 0 offen
	s_waitcnt lgkmcnt(0)
	s_waitcnt_vscnt null, 0x0
	s_barrier
	ds_store_2addr_stride64_b32 v138, v104, v105 offset1:1
	ds_store_2addr_stride64_b32 v138, v106, v107 offset0:2 offset1:3
	ds_store_2addr_stride64_b32 v138, v108, v109 offset0:4 offset1:5
	;; [unrolled: 1-line block ×3, first 2 shown]
	s_waitcnt lgkmcnt(0)
	s_barrier
	buffer_load_b64 v[108:109], v121, s[16:19], 0 offen
	v_or_b32_e32 v110, 0x80, v139
	ds_load_b128 v[104:107], v137
	v_lshlrev_b32_e32 v118, 1, v117
	v_cmp_gt_i32_e64 s8, s10, v110
	v_cmp_gt_i32_e64 s7, s11, v110
	s_delay_alu instid0(VALU_DEP_2) | instskip(SKIP_4) | instid1(SALU_CYCLE_1)
	s_and_b32 s9, s2, s8
	s_waitcnt vmcnt(0)
	v_cndmask_b32_e64 v108, 0, v108, s9
	v_cndmask_b32_e64 v109, 0, v109, s9
	s_and_b32 s9, s1, s7
	v_cndmask_b32_e64 v110, 0x80000000, 0, s9
	s_delay_alu instid0(VALU_DEP_3) | instskip(NEXT) | instid1(VALU_DEP_3)
	v_cvt_f32_f16_e32 v111, v108
	v_cvt_f32_f16_e32 v112, v109
	v_lshrrev_b32_e32 v109, 16, v109
	v_lshrrev_b32_e32 v108, 16, v108
	s_delay_alu instid0(VALU_DEP_4) | instskip(NEXT) | instid1(VALU_DEP_4)
	v_dual_mul_f32 v115, s25, v111 :: v_dual_add_nc_u32 v110, v118, v110
	v_mul_f32_e32 v116, s25, v112
	s_delay_alu instid0(VALU_DEP_4) | instskip(NEXT) | instid1(VALU_DEP_4)
	v_cvt_f32_f16_e32 v122, v109
	v_cvt_f32_f16_e32 v123, v108
	ds_load_b128 v[111:114], v137 offset:16
	s_waitcnt lgkmcnt(1)
	v_fma_mixlo_f16 v108, s24, v104, v115
	v_fma_mixlo_f16 v109, s24, v106, v116
	v_mul_f32_e32 v104, s25, v122
	v_mul_f32_e32 v106, s25, v123
	s_and_b32 s9, s0, s8
	v_add_nc_u32_e32 v122, 64, v119
	s_delay_alu instid0(VALU_DEP_3) | instskip(NEXT) | instid1(VALU_DEP_3)
	v_fma_mixhi_f16 v109, s24, v107, v104
	v_fma_mixhi_f16 v108, s24, v105, v106
	buffer_store_b64 v[108:109], v110, s[20:23], 0 offen
	buffer_load_b64 v[104:105], v121, s[16:19], 0 offen offset:8
	s_waitcnt vmcnt(0)
	v_cndmask_b32_e64 v104, 0, v104, s9
	v_cndmask_b32_e64 v105, 0, v105, s9
	s_and_b32 s9, vcc_lo, s7
	s_delay_alu instid0(SALU_CYCLE_1) | instskip(NEXT) | instid1(VALU_DEP_3)
	v_cndmask_b32_e64 v108, 0x80000008, 8, s9
	v_cvt_f32_f16_e32 v106, v104
	s_delay_alu instid0(VALU_DEP_3) | instskip(SKIP_3) | instid1(VALU_DEP_4)
	v_cvt_f32_f16_e32 v107, v105
	v_lshrrev_b32_e32 v105, 16, v105
	v_lshrrev_b32_e32 v104, 16, v104
	v_add_nc_u32_e32 v124, v108, v118
	v_dual_mul_f32 v106, s25, v106 :: v_dual_mul_f32 v107, s25, v107
	s_delay_alu instid0(VALU_DEP_4) | instskip(NEXT) | instid1(VALU_DEP_4)
	v_cvt_f32_f16_e32 v105, v105
	v_cvt_f32_f16_e32 v104, v104
	s_and_b32 s9, s3, s8
	s_waitcnt lgkmcnt(0)
	v_fma_mixlo_f16 v115, s24, v111, v106
	v_fma_mixlo_f16 v116, s24, v113, v107
	v_mul_f32_e32 v113, s25, v105
	v_mul_f32_e32 v123, s25, v104
	v_wmma_f32_16x16x16_f16 v[104:111], v[88:95], v[24:31], v[16:23]
	v_lshlrev_b32_e32 v88, 1, v122
	s_delay_alu instid0(VALU_DEP_4) | instskip(NEXT) | instid1(VALU_DEP_4)
	v_fma_mixhi_f16 v116, s24, v114, v113
	v_fma_mixhi_f16 v115, s24, v112, v123
	s_delay_alu instid0(VALU_DEP_4)
	v_wmma_f32_16x16x16_f16 v[104:111], v[96:103], v[40:47], v[104:111]
	v_add_nc_u32_e32 v101, 64, v117
	s_and_b32 s8, s6, s8
	buffer_store_b64 v[115:116], v124, s[20:23], 0 offen
	s_waitcnt lgkmcnt(0)
	s_waitcnt_vscnt null, 0x0
	s_barrier
	ds_store_2addr_stride64_b32 v138, v104, v105 offset1:1
	ds_store_2addr_stride64_b32 v138, v106, v107 offset0:2 offset1:3
	ds_store_2addr_stride64_b32 v138, v108, v109 offset0:4 offset1:5
	;; [unrolled: 1-line block ×3, first 2 shown]
	s_waitcnt lgkmcnt(0)
	s_barrier
	buffer_load_b64 v[92:93], v88, s[16:19], 0 offen
	ds_load_b128 v[88:91], v137
	s_waitcnt vmcnt(0)
	v_cndmask_b32_e64 v92, 0, v92, s9
	v_cndmask_b32_e64 v93, 0, v93, s9
	s_and_b32 s9, s5, s7
	s_and_b32 s7, s4, s7
	v_cndmask_b32_e64 v94, 0x80000000, 0, s9
	v_cvt_f32_f16_e32 v95, v92
	v_cvt_f32_f16_e32 v96, v93
	v_lshrrev_b32_e32 v93, 16, v93
	v_lshrrev_b32_e32 v92, 16, v92
	v_lshl_add_u32 v94, v101, 1, v94
	s_delay_alu instid0(VALU_DEP_4) | instskip(NEXT) | instid1(VALU_DEP_4)
	v_dual_mul_f32 v99, s25, v95 :: v_dual_mul_f32 v100, s25, v96
	v_cvt_f32_f16_e32 v102, v93
	s_delay_alu instid0(VALU_DEP_4)
	v_cvt_f32_f16_e32 v103, v92
	ds_load_b128 v[95:98], v137 offset:16
	s_waitcnt lgkmcnt(1)
	v_fma_mixlo_f16 v92, s24, v88, v99
	v_fma_mixlo_f16 v93, s24, v90, v100
	v_mul_f32_e32 v88, s25, v102
	v_mul_f32_e32 v90, s25, v103
	v_add_lshl_u32 v101, v101, s13, 1
	s_delay_alu instid0(VALU_DEP_3) | instskip(NEXT) | instid1(VALU_DEP_3)
	v_fma_mixhi_f16 v93, s24, v91, v88
	v_fma_mixhi_f16 v92, s24, v89, v90
	buffer_store_b64 v[92:93], v94, s[20:23], 0 offen
	buffer_load_b64 v[88:89], v121, s[16:19], 0 offen offset:136
	v_cndmask_b32_e64 v92, 0x80000088, v120, s7
	s_delay_alu instid0(VALU_DEP_1) | instskip(SKIP_3) | instid1(VALU_DEP_2)
	v_add_nc_u32_e32 v103, v92, v118
	s_waitcnt vmcnt(0)
	v_cndmask_b32_e64 v88, 0, v88, s8
	v_cndmask_b32_e64 v89, 0, v89, s8
	v_cvt_f32_f16_e32 v90, v88
	s_delay_alu instid0(VALU_DEP_2) | instskip(SKIP_2) | instid1(VALU_DEP_3)
	v_cvt_f32_f16_e32 v91, v89
	v_lshrrev_b32_e32 v89, 16, v89
	v_lshrrev_b32_e32 v88, 16, v88
	v_dual_mul_f32 v90, s25, v90 :: v_dual_mul_f32 v91, s25, v91
	s_delay_alu instid0(VALU_DEP_3) | instskip(NEXT) | instid1(VALU_DEP_3)
	v_cvt_f32_f16_e32 v89, v89
	v_cvt_f32_f16_e32 v88, v88
	s_waitcnt lgkmcnt(0)
	s_delay_alu instid0(VALU_DEP_3) | instskip(SKIP_1) | instid1(VALU_DEP_3)
	v_fma_mixlo_f16 v99, s24, v95, v90
	v_fma_mixlo_f16 v100, s24, v97, v91
	v_dual_mul_f32 v97, s25, v89 :: v_dual_mul_f32 v102, s25, v88
	v_wmma_f32_16x16x16_f16 v[88:95], v[72:79], v[24:31], v[16:23]
	s_delay_alu instid0(VALU_DEP_2) | instskip(NEXT) | instid1(VALU_DEP_3)
	v_fma_mixhi_f16 v100, s24, v98, v97
	v_fma_mixhi_f16 v99, s24, v96, v102
	s_delay_alu instid0(VALU_DEP_3)
	v_wmma_f32_16x16x16_f16 v[88:95], v[80:87], v[40:47], v[88:95]
	v_add_lshl_u32 v102, v122, s12, 1
	buffer_store_b64 v[99:100], v103, s[20:23], 0 offen
	s_waitcnt lgkmcnt(0)
	s_waitcnt_vscnt null, 0x0
	s_barrier
	ds_store_2addr_stride64_b32 v138, v88, v89 offset1:1
	ds_store_2addr_stride64_b32 v138, v90, v91 offset0:2 offset1:3
	ds_store_2addr_stride64_b32 v138, v92, v93 offset0:4 offset1:5
	;; [unrolled: 1-line block ×3, first 2 shown]
	s_waitcnt lgkmcnt(0)
	s_barrier
	buffer_load_b64 v[92:93], v102, s[16:19], 0 offen
	v_or_b32_e32 v94, 0xa0, v139
	ds_load_b128 v[88:91], v137
	v_cmp_gt_i32_e64 s8, s10, v94
	v_cmp_gt_i32_e64 s7, s11, v94
	s_delay_alu instid0(VALU_DEP_2) | instskip(SKIP_4) | instid1(SALU_CYCLE_1)
	s_and_b32 s9, s3, s8
	s_waitcnt vmcnt(0)
	v_cndmask_b32_e64 v92, 0, v92, s9
	v_cndmask_b32_e64 v93, 0, v93, s9
	s_and_b32 s9, s5, s7
	v_cndmask_b32_e64 v94, 0x80000000, 0, s9
	s_delay_alu instid0(VALU_DEP_3) | instskip(NEXT) | instid1(VALU_DEP_3)
	v_cvt_f32_f16_e32 v95, v92
	v_cvt_f32_f16_e32 v96, v93
	v_lshrrev_b32_e32 v93, 16, v93
	v_lshrrev_b32_e32 v92, 16, v92
	s_delay_alu instid0(VALU_DEP_4) | instskip(NEXT) | instid1(VALU_DEP_4)
	v_dual_mul_f32 v99, s25, v95 :: v_dual_add_nc_u32 v94, v101, v94
	v_mul_f32_e32 v100, s25, v96
	s_delay_alu instid0(VALU_DEP_4) | instskip(NEXT) | instid1(VALU_DEP_4)
	v_cvt_f32_f16_e32 v103, v93
	v_cvt_f32_f16_e32 v104, v92
	ds_load_b128 v[95:98], v137 offset:16
	s_waitcnt lgkmcnt(1)
	v_fma_mixlo_f16 v92, s24, v88, v99
	v_fma_mixlo_f16 v93, s24, v90, v100
	v_mul_f32_e32 v88, s25, v103
	v_mul_f32_e32 v90, s25, v104
	s_and_b32 s9, s6, s8
	s_delay_alu instid0(VALU_DEP_2) | instskip(NEXT) | instid1(VALU_DEP_2)
	v_fma_mixhi_f16 v93, s24, v91, v88
	v_fma_mixhi_f16 v92, s24, v89, v90
	buffer_store_b64 v[92:93], v94, s[20:23], 0 offen
	buffer_load_b64 v[88:89], v102, s[16:19], 0 offen offset:8
	v_add_nc_u32_e32 v102, s12, v119
	s_waitcnt vmcnt(0)
	v_cndmask_b32_e64 v88, 0, v88, s9
	v_cndmask_b32_e64 v89, 0, v89, s9
	s_and_b32 s9, s4, s7
	s_delay_alu instid0(SALU_CYCLE_1) | instskip(NEXT) | instid1(VALU_DEP_3)
	v_cndmask_b32_e64 v92, 0x80000008, 8, s9
	v_cvt_f32_f16_e32 v90, v88
	s_delay_alu instid0(VALU_DEP_3) | instskip(SKIP_2) | instid1(VALU_DEP_4)
	v_cvt_f32_f16_e32 v91, v89
	v_lshrrev_b32_e32 v89, 16, v89
	v_lshrrev_b32_e32 v88, 16, v88
	v_dual_mul_f32 v90, s25, v90 :: v_dual_add_nc_u32 v101, v92, v101
	s_delay_alu instid0(VALU_DEP_4) | instskip(NEXT) | instid1(VALU_DEP_4)
	v_mul_f32_e32 v91, s25, v91
	v_cvt_f32_f16_e32 v89, v89
	s_delay_alu instid0(VALU_DEP_4)
	v_cvt_f32_f16_e32 v88, v88
	s_and_b32 s9, s2, s8
	s_waitcnt lgkmcnt(0)
	v_fma_mixlo_f16 v99, s24, v95, v90
	v_fma_mixlo_f16 v100, s24, v97, v91
	v_mul_f32_e32 v97, s25, v89
	v_mul_f32_e32 v103, s25, v88
	v_wmma_f32_16x16x16_f16 v[88:95], v[72:79], v[32:39], v[16:23]
	v_lshlrev_b32_e32 v78, 1, v102
	s_delay_alu instid0(VALU_DEP_4) | instskip(NEXT) | instid1(VALU_DEP_4)
	v_fma_mixhi_f16 v100, s24, v98, v97
	v_fma_mixhi_f16 v99, s24, v96, v103
	s_delay_alu instid0(VALU_DEP_4)
	v_wmma_f32_16x16x16_f16 v[88:95], v[80:87], v[0:7], v[88:95]
	v_add_nc_u32_e32 v85, s13, v117
	s_and_b32 s8, s0, s8
	buffer_store_b64 v[99:100], v101, s[20:23], 0 offen
	s_waitcnt lgkmcnt(0)
	s_waitcnt_vscnt null, 0x0
	s_barrier
	ds_store_2addr_stride64_b32 v138, v88, v89 offset1:1
	ds_store_2addr_stride64_b32 v138, v90, v91 offset0:2 offset1:3
	ds_store_2addr_stride64_b32 v138, v92, v93 offset0:4 offset1:5
	;; [unrolled: 1-line block ×3, first 2 shown]
	s_waitcnt lgkmcnt(0)
	s_barrier
	buffer_load_b64 v[76:77], v78, s[16:19], 0 offen
	ds_load_b128 v[72:75], v137
	v_lshlrev_b32_e32 v86, 1, v85
	v_add_nc_u32_e32 v85, s13, v85
	s_waitcnt vmcnt(0)
	v_cndmask_b32_e64 v76, 0, v76, s9
	v_cndmask_b32_e64 v77, 0, v77, s9
	s_and_b32 s9, s1, s7
	s_and_b32 s7, vcc_lo, s7
	v_cndmask_b32_e64 v83, 0x80000000, 0, s9
	v_cvt_f32_f16_e32 v79, v76
	v_cvt_f32_f16_e32 v80, v77
	v_lshrrev_b32_e32 v77, 16, v77
	v_lshrrev_b32_e32 v76, 16, v76
	v_add_nc_u32_e32 v83, v86, v83
	s_delay_alu instid0(VALU_DEP_4) | instskip(NEXT) | instid1(VALU_DEP_4)
	v_dual_mul_f32 v84, s25, v79 :: v_dual_mul_f32 v87, s25, v80
	v_cvt_f32_f16_e32 v88, v77
	s_delay_alu instid0(VALU_DEP_4)
	v_cvt_f32_f16_e32 v89, v76
	ds_load_b128 v[79:82], v137 offset:16
	s_waitcnt lgkmcnt(1)
	v_fma_mixlo_f16 v76, s24, v72, v84
	v_fma_mixlo_f16 v77, s24, v74, v87
	v_mul_f32_e32 v72, s25, v88
	v_dual_mul_f32 v74, s25, v89 :: v_dual_add_nc_u32 v87, s12, v102
	s_delay_alu instid0(VALU_DEP_2) | instskip(NEXT) | instid1(VALU_DEP_2)
	v_fma_mixhi_f16 v77, s24, v75, v72
	v_fma_mixhi_f16 v76, s24, v73, v74
	buffer_store_b64 v[76:77], v83, s[20:23], 0 offen
	buffer_load_b64 v[72:73], v78, s[16:19], 0 offen offset:8
	v_cndmask_b32_e64 v76, 0x80000008, 8, s7
	s_delay_alu instid0(VALU_DEP_1) | instskip(SKIP_3) | instid1(VALU_DEP_2)
	v_add_nc_u32_e32 v86, v76, v86
	s_waitcnt vmcnt(0)
	v_cndmask_b32_e64 v72, 0, v72, s8
	v_cndmask_b32_e64 v73, 0, v73, s8
	v_cvt_f32_f16_e32 v74, v72
	s_delay_alu instid0(VALU_DEP_2) | instskip(SKIP_2) | instid1(VALU_DEP_3)
	v_cvt_f32_f16_e32 v75, v73
	v_lshrrev_b32_e32 v73, 16, v73
	v_lshrrev_b32_e32 v72, 16, v72
	v_dual_mul_f32 v74, s25, v74 :: v_dual_mul_f32 v75, s25, v75
	s_delay_alu instid0(VALU_DEP_3) | instskip(NEXT) | instid1(VALU_DEP_3)
	v_cvt_f32_f16_e32 v73, v73
	v_cvt_f32_f16_e32 v72, v72
	s_waitcnt lgkmcnt(0)
	s_delay_alu instid0(VALU_DEP_3) | instskip(SKIP_1) | instid1(VALU_DEP_3)
	v_fma_mixlo_f16 v83, s24, v79, v74
	v_fma_mixlo_f16 v84, s24, v81, v75
	v_dual_mul_f32 v81, s25, v73 :: v_dual_mul_f32 v88, s25, v72
	v_wmma_f32_16x16x16_f16 v[72:79], v[56:63], v[32:39], v[16:23]
	s_delay_alu instid0(VALU_DEP_2) | instskip(NEXT) | instid1(VALU_DEP_3)
	v_fma_mixhi_f16 v84, s24, v82, v81
	v_fma_mixhi_f16 v83, s24, v80, v88
	s_delay_alu instid0(VALU_DEP_3)
	v_wmma_f32_16x16x16_f16 v[72:79], v[64:71], v[0:7], v[72:79]
	v_lshlrev_b32_e32 v88, 1, v87
	buffer_store_b64 v[83:84], v86, s[20:23], 0 offen
	s_waitcnt lgkmcnt(0)
	s_waitcnt_vscnt null, 0x0
	s_barrier
	ds_store_2addr_stride64_b32 v138, v72, v73 offset1:1
	ds_store_2addr_stride64_b32 v138, v74, v75 offset0:2 offset1:3
	ds_store_2addr_stride64_b32 v138, v76, v77 offset0:4 offset1:5
	;; [unrolled: 1-line block ×3, first 2 shown]
	s_waitcnt lgkmcnt(0)
	s_barrier
	buffer_load_b64 v[76:77], v88, s[16:19], 0 offen
	v_or_b32_e32 v78, 0xc0, v139
	ds_load_b128 v[72:75], v137
	v_lshlrev_b32_e32 v86, 1, v85
	v_cmp_gt_i32_e64 s7, s10, v78
	v_cmp_gt_i32_e64 s8, s11, v78
	s_delay_alu instid0(VALU_DEP_2) | instskip(SKIP_4) | instid1(SALU_CYCLE_1)
	s_and_b32 s9, s2, s7
	s_waitcnt vmcnt(0)
	v_cndmask_b32_e64 v76, 0, v76, s9
	v_cndmask_b32_e64 v77, 0, v77, s9
	s_and_b32 s9, s1, s8
	v_cndmask_b32_e64 v78, 0x80000000, 0, s9
	s_delay_alu instid0(VALU_DEP_3) | instskip(NEXT) | instid1(VALU_DEP_3)
	v_cvt_f32_f16_e32 v79, v76
	v_cvt_f32_f16_e32 v80, v77
	v_lshrrev_b32_e32 v77, 16, v77
	v_lshrrev_b32_e32 v76, 16, v76
	s_delay_alu instid0(VALU_DEP_4) | instskip(NEXT) | instid1(VALU_DEP_4)
	v_dual_mul_f32 v83, s25, v79 :: v_dual_add_nc_u32 v78, v86, v78
	v_mul_f32_e32 v84, s25, v80
	ds_load_b128 v[79:82], v137 offset:16
	v_cvt_f32_f16_e32 v89, v77
	v_cvt_f32_f16_e32 v90, v76
	s_waitcnt lgkmcnt(1)
	v_fma_mixlo_f16 v76, s24, v72, v83
	v_fma_mixlo_f16 v77, s24, v74, v84
	s_and_b32 s9, s0, s7
	v_mul_f32_e32 v72, s25, v89
	v_dual_mul_f32 v74, s25, v90 :: v_dual_add_nc_u32 v89, 64, v87
	s_delay_alu instid0(VALU_DEP_2) | instskip(NEXT) | instid1(VALU_DEP_2)
	v_fma_mixhi_f16 v77, s24, v75, v72
	v_fma_mixhi_f16 v76, s24, v73, v74
	buffer_store_b64 v[76:77], v78, s[20:23], 0 offen
	buffer_load_b64 v[72:73], v88, s[16:19], 0 offen offset:8
	s_waitcnt vmcnt(0)
	v_cndmask_b32_e64 v72, 0, v72, s9
	v_cndmask_b32_e64 v73, 0, v73, s9
	s_and_b32 s9, vcc_lo, s8
	s_delay_alu instid0(SALU_CYCLE_1) | instskip(NEXT) | instid1(VALU_DEP_3)
	v_cndmask_b32_e64 v76, 0x80000008, 8, s9
	v_cvt_f32_f16_e32 v74, v72
	s_delay_alu instid0(VALU_DEP_3) | instskip(SKIP_3) | instid1(VALU_DEP_4)
	v_cvt_f32_f16_e32 v75, v73
	v_lshrrev_b32_e32 v73, 16, v73
	v_lshrrev_b32_e32 v72, 16, v72
	v_add_nc_u32_e32 v91, v76, v86
	v_dual_mul_f32 v74, s25, v74 :: v_dual_mul_f32 v75, s25, v75
	s_delay_alu instid0(VALU_DEP_4) | instskip(NEXT) | instid1(VALU_DEP_4)
	v_cvt_f32_f16_e32 v73, v73
	v_cvt_f32_f16_e32 v72, v72
	s_and_b32 s9, s3, s7
	s_waitcnt lgkmcnt(0)
	v_fma_mixlo_f16 v83, s24, v79, v74
	v_fma_mixlo_f16 v84, s24, v81, v75
	v_dual_mul_f32 v81, s25, v73 :: v_dual_mul_f32 v90, s25, v72
	v_wmma_f32_16x16x16_f16 v[72:79], v[56:63], v[24:31], v[16:23]
	v_lshlrev_b32_e32 v56, 1, v89
	s_delay_alu instid0(VALU_DEP_3) | instskip(NEXT) | instid1(VALU_DEP_4)
	v_fma_mixhi_f16 v84, s24, v82, v81
	v_fma_mixhi_f16 v83, s24, v80, v90
	s_delay_alu instid0(VALU_DEP_4)
	v_wmma_f32_16x16x16_f16 v[72:79], v[64:71], v[40:47], v[72:79]
	v_add_nc_u32_e32 v69, 64, v85
	s_and_b32 s7, s6, s7
	buffer_store_b64 v[83:84], v91, s[20:23], 0 offen
	s_waitcnt lgkmcnt(0)
	s_waitcnt_vscnt null, 0x0
	s_barrier
	ds_store_2addr_stride64_b32 v138, v72, v73 offset1:1
	ds_store_2addr_stride64_b32 v138, v74, v75 offset0:2 offset1:3
	ds_store_2addr_stride64_b32 v138, v76, v77 offset0:4 offset1:5
	;; [unrolled: 1-line block ×3, first 2 shown]
	s_waitcnt lgkmcnt(0)
	s_barrier
	buffer_load_b64 v[60:61], v56, s[16:19], 0 offen
	ds_load_b128 v[56:59], v137
	s_waitcnt vmcnt(0)
	v_cndmask_b32_e64 v60, 0, v60, s9
	v_cndmask_b32_e64 v61, 0, v61, s9
	s_and_b32 s9, s5, s8
	s_delay_alu instid0(SALU_CYCLE_1) | instskip(NEXT) | instid1(VALU_DEP_3)
	v_cndmask_b32_e64 v62, 0x80000000, 0, s9
	v_cvt_f32_f16_e32 v63, v60
	s_delay_alu instid0(VALU_DEP_3) | instskip(SKIP_3) | instid1(VALU_DEP_4)
	v_cvt_f32_f16_e32 v64, v61
	v_lshrrev_b32_e32 v61, 16, v61
	v_lshrrev_b32_e32 v60, 16, v60
	v_lshl_add_u32 v62, v69, 1, v62
	v_dual_mul_f32 v67, s25, v63 :: v_dual_mul_f32 v68, s25, v64
	ds_load_b128 v[63:66], v137 offset:16
	v_cvt_f32_f16_e32 v70, v61
	v_cvt_f32_f16_e32 v71, v60
	s_waitcnt lgkmcnt(1)
	v_fma_mixlo_f16 v60, s24, v56, v67
	v_fma_mixlo_f16 v61, s24, v58, v68
	v_mul_f32_e32 v56, s25, v70
	v_mul_f32_e32 v58, s25, v71
	s_delay_alu instid0(VALU_DEP_2) | instskip(NEXT) | instid1(VALU_DEP_2)
	v_fma_mixhi_f16 v61, s24, v59, v56
	v_fma_mixhi_f16 v60, s24, v57, v58
	buffer_store_b64 v[60:61], v62, s[20:23], 0 offen
	buffer_load_b64 v[56:57], v88, s[16:19], 0 offen offset:136
	s_waitcnt vmcnt(0)
	v_cndmask_b32_e64 v56, 0, v56, s7
	v_cndmask_b32_e64 v57, 0, v57, s7
	s_and_b32 s7, s4, s8
	s_delay_alu instid0(SALU_CYCLE_1) | instskip(NEXT) | instid1(VALU_DEP_3)
	v_cndmask_b32_e64 v60, 0x80000088, v120, s7
	v_cvt_f32_f16_e32 v58, v56
	s_delay_alu instid0(VALU_DEP_3) | instskip(SKIP_3) | instid1(VALU_DEP_4)
	v_cvt_f32_f16_e32 v59, v57
	v_lshrrev_b32_e32 v57, 16, v57
	v_lshrrev_b32_e32 v56, 16, v56
	v_add_nc_u32_e32 v70, v60, v86
	v_dual_mul_f32 v58, s25, v58 :: v_dual_mul_f32 v59, s25, v59
	s_delay_alu instid0(VALU_DEP_4) | instskip(NEXT) | instid1(VALU_DEP_4)
	v_cvt_f32_f16_e32 v57, v57
	v_cvt_f32_f16_e32 v56, v56
	s_waitcnt lgkmcnt(0)
	s_delay_alu instid0(VALU_DEP_3)
	v_fma_mixlo_f16 v67, s24, v63, v58
	v_fma_mixlo_f16 v68, s24, v65, v59
	v_mul_f32_e32 v65, s25, v57
	v_mul_f32_e32 v71, s25, v56
	v_wmma_f32_16x16x16_f16 v[56:63], v[48:55], v[32:39], v[16:23]
	v_wmma_f32_16x16x16_f16 v[16:23], v[48:55], v[24:31], v[16:23]
	s_delay_alu instid0(VALU_DEP_4) | instskip(NEXT) | instid1(VALU_DEP_4)
	v_fma_mixhi_f16 v68, s24, v66, v65
	v_fma_mixhi_f16 v67, s24, v64, v71
	v_add_lshl_u32 v26, v89, s12, 1
	v_add_lshl_u32 v28, v69, s13, 1
	v_wmma_f32_16x16x16_f16 v[16:23], v[8:15], v[40:47], v[16:23]
	v_wmma_f32_16x16x16_f16 v[56:63], v[8:15], v[0:7], v[56:63]
	buffer_store_b64 v[67:68], v70, s[20:23], 0 offen
	s_waitcnt lgkmcnt(0)
	s_waitcnt_vscnt null, 0x0
	s_barrier
	ds_store_2addr_stride64_b32 v138, v16, v17 offset1:1
	ds_store_2addr_stride64_b32 v138, v18, v19 offset0:2 offset1:3
	ds_store_2addr_stride64_b32 v138, v20, v21 offset0:4 offset1:5
	;; [unrolled: 1-line block ×3, first 2 shown]
	s_waitcnt lgkmcnt(0)
	s_barrier
	buffer_load_b64 v[20:21], v26, s[16:19], 0 offen
	v_or_b32_e32 v22, 0xe0, v139
	ds_load_b128 v[16:19], v137
	v_add_lshl_u32 v10, v87, s12, 1
	v_add_lshl_u32 v12, v85, s13, 1
	v_cmp_gt_i32_e64 s8, s10, v22
	v_cmp_gt_i32_e64 s7, s11, v22
	s_delay_alu instid0(VALU_DEP_2) | instskip(SKIP_1) | instid1(VALU_DEP_1)
	s_and_b32 s3, s3, s8
	s_and_b32 s2, s2, s8
	;; [unrolled: 1-line block ×4, first 2 shown]
	v_cndmask_b32_e64 v11, 0x80000000, 0, s1
	s_delay_alu instid0(VALU_DEP_1) | instskip(SKIP_4) | instid1(SALU_CYCLE_1)
	v_add_nc_u32_e32 v11, v12, v11
	s_waitcnt vmcnt(0)
	v_cndmask_b32_e64 v20, 0, v20, s3
	v_cndmask_b32_e64 v21, 0, v21, s3
	s_and_b32 s3, s5, s7
	v_cndmask_b32_e64 v27, 0x80000000, 0, s3
	s_delay_alu instid0(VALU_DEP_3) | instskip(NEXT) | instid1(VALU_DEP_3)
	v_cvt_f32_f16_e32 v22, v20
	v_cvt_f32_f16_e32 v23, v21
	v_lshrrev_b32_e32 v21, 16, v21
	v_lshrrev_b32_e32 v20, 16, v20
	s_delay_alu instid0(VALU_DEP_4) | instskip(NEXT) | instid1(VALU_DEP_4)
	v_dual_mul_f32 v24, s25, v22 :: v_dual_add_nc_u32 v27, v28, v27
	v_mul_f32_e32 v25, s25, v23
	s_delay_alu instid0(VALU_DEP_4) | instskip(NEXT) | instid1(VALU_DEP_4)
	v_cvt_f32_f16_e32 v29, v21
	v_cvt_f32_f16_e32 v30, v20
	ds_load_b128 v[20:23], v137 offset:16
	s_waitcnt lgkmcnt(1)
	v_fma_mixlo_f16 v24, s24, v16, v24
	v_fma_mixlo_f16 v25, s24, v18, v25
	v_mul_f32_e32 v16, s25, v29
	v_mul_f32_e32 v18, s25, v30
	s_and_b32 s3, s6, s8
	s_delay_alu instid0(VALU_DEP_2) | instskip(NEXT) | instid1(VALU_DEP_2)
	v_fma_mixhi_f16 v25, s24, v19, v16
	v_fma_mixhi_f16 v24, s24, v17, v18
	buffer_store_b64 v[24:25], v27, s[20:23], 0 offen
	buffer_load_b64 v[16:17], v26, s[16:19], 0 offen offset:8
	s_waitcnt vmcnt(0)
	v_cndmask_b32_e64 v16, 0, v16, s3
	v_cndmask_b32_e64 v17, 0, v17, s3
	s_and_b32 s3, s4, s7
	s_delay_alu instid0(SALU_CYCLE_1) | instskip(NEXT) | instid1(VALU_DEP_3)
	v_cndmask_b32_e64 v26, 0x80000008, 8, s3
	v_cvt_f32_f16_e32 v18, v16
	s_delay_alu instid0(VALU_DEP_3) | instskip(SKIP_2) | instid1(VALU_DEP_3)
	v_cvt_f32_f16_e32 v19, v17
	v_lshrrev_b32_e32 v17, 16, v17
	v_lshrrev_b32_e32 v16, 16, v16
	v_dual_mul_f32 v18, s25, v18 :: v_dual_mul_f32 v19, s25, v19
	s_delay_alu instid0(VALU_DEP_3) | instskip(NEXT) | instid1(VALU_DEP_3)
	v_cvt_f32_f16_e32 v24, v17
	v_cvt_f32_f16_e32 v25, v16
	s_waitcnt lgkmcnt(0)
	s_delay_alu instid0(VALU_DEP_3) | instskip(SKIP_1) | instid1(VALU_DEP_3)
	v_fma_mixlo_f16 v16, s24, v20, v18
	v_fma_mixlo_f16 v17, s24, v22, v19
	v_dual_mul_f32 v18, s25, v24 :: v_dual_mul_f32 v19, s25, v25
	v_add_nc_u32_e32 v20, v26, v28
	s_delay_alu instid0(VALU_DEP_2) | instskip(NEXT) | instid1(VALU_DEP_3)
	v_fma_mixhi_f16 v17, s24, v23, v18
	v_fma_mixhi_f16 v16, s24, v21, v19
	buffer_store_b64 v[16:17], v20, s[20:23], 0 offen
	s_waitcnt lgkmcnt(0)
	s_waitcnt_vscnt null, 0x0
	s_barrier
	ds_store_2addr_stride64_b32 v138, v56, v57 offset1:1
	ds_store_2addr_stride64_b32 v138, v58, v59 offset0:2 offset1:3
	ds_store_2addr_stride64_b32 v138, v60, v61 offset0:4 offset1:5
	;; [unrolled: 1-line block ×3, first 2 shown]
	s_waitcnt lgkmcnt(0)
	s_barrier
	buffer_load_b64 v[4:5], v10, s[16:19], 0 offen
	ds_load_b128 v[0:3], v137
	s_waitcnt vmcnt(0)
	v_cndmask_b32_e64 v4, 0, v4, s2
	v_cndmask_b32_e64 v5, 0, v5, s2
	s_delay_alu instid0(VALU_DEP_2) | instskip(NEXT) | instid1(VALU_DEP_2)
	v_cvt_f32_f16_e32 v6, v4
	v_cvt_f32_f16_e32 v7, v5
	v_lshrrev_b32_e32 v5, 16, v5
	v_lshrrev_b32_e32 v4, 16, v4
	s_delay_alu instid0(VALU_DEP_3) | instskip(NEXT) | instid1(VALU_DEP_3)
	v_dual_mul_f32 v8, s25, v6 :: v_dual_mul_f32 v9, s25, v7
	v_cvt_f32_f16_e32 v13, v5
	s_delay_alu instid0(VALU_DEP_3)
	v_cvt_f32_f16_e32 v14, v4
	ds_load_b128 v[4:7], v137 offset:16
	s_waitcnt lgkmcnt(1)
	v_fma_mixlo_f16 v8, s24, v0, v8
	v_fma_mixlo_f16 v9, s24, v2, v9
	v_mul_f32_e32 v0, s25, v13
	v_mul_f32_e32 v2, s25, v14
	s_delay_alu instid0(VALU_DEP_2) | instskip(NEXT) | instid1(VALU_DEP_2)
	v_fma_mixhi_f16 v9, s24, v3, v0
	v_fma_mixhi_f16 v8, s24, v1, v2
	buffer_store_b64 v[8:9], v11, s[20:23], 0 offen
	buffer_load_b64 v[0:1], v10, s[16:19], 0 offen offset:8
	s_waitcnt vmcnt(0)
	v_cndmask_b32_e64 v0, 0, v0, s0
	v_cndmask_b32_e64 v1, 0, v1, s0
	s_and_b32 s0, vcc_lo, s7
	s_delay_alu instid0(VALU_DEP_2) | instskip(NEXT) | instid1(VALU_DEP_2)
	v_cvt_f32_f16_e32 v2, v0
	v_cvt_f32_f16_e32 v3, v1
	v_lshrrev_b32_e32 v1, 16, v1
	v_lshrrev_b32_e32 v0, 16, v0
	s_delay_alu instid0(VALU_DEP_3) | instskip(NEXT) | instid1(VALU_DEP_3)
	v_dual_mul_f32 v2, s25, v2 :: v_dual_mul_f32 v3, s25, v3
	v_cvt_f32_f16_e32 v8, v1
	s_delay_alu instid0(VALU_DEP_3) | instskip(SKIP_1) | instid1(VALU_DEP_3)
	v_cvt_f32_f16_e32 v9, v0
	s_waitcnt lgkmcnt(0)
	v_fma_mixlo_f16 v0, s24, v4, v2
	v_fma_mixlo_f16 v1, s24, v6, v3
	s_delay_alu instid0(VALU_DEP_3) | instskip(SKIP_1) | instid1(VALU_DEP_2)
	v_dual_mul_f32 v2, s25, v8 :: v_dual_mul_f32 v3, s25, v9
	v_cndmask_b32_e64 v4, 0x80000008, 8, s0
	v_fma_mixhi_f16 v1, s24, v7, v2
	s_delay_alu instid0(VALU_DEP_3) | instskip(NEXT) | instid1(VALU_DEP_3)
	v_fma_mixhi_f16 v0, s24, v5, v3
	v_add_nc_u32_e32 v2, v4, v12
	buffer_store_b64 v[0:1], v2, s[20:23], 0 offen
	s_nop 0
	s_sendmsg sendmsg(MSG_DEALLOC_VGPRS)
	s_endpgm
	.section	.rodata,"a",@progbits
	.p2align	6, 0x0
	.amdhsa_kernel _ZN2ck35kernel_gemm_multiple_d_xdl_cshuffleINS_34GridwiseGemmMultipleD_xdl_cshuffleIDF16_DF16_DF16_ffNS_5TupleIJDF16_EEEDF16_NS_16tensor_operation12element_wise11PassThroughES6_12AlphaBetaAddLi1ELi256ELi256ELi128ELi32ELi8ELi8ELi16ELi16ELi8ELi2ENS_8SequenceIJLi4ELi64ELi1EEEENS8_IJLi1ELi0ELi2EEEESA_Li2ELi8ELi8ELb0ELi1ES9_SA_SA_Li2ELi8ELi8ELb0ELi1ELi1ELi1ENS8_IJLi1ELi32ELi1ELi8EEEELi4ELNS_13LoopSchedulerE0ELNS_15PipelineVersionE0EDF16_Lb0EEEDF16_DF16_NS2_IJPKDF16_EEEDF16_S6_S6_S7_NS_16TensorDescriptorINS2_IJNS_5EmbedINS2_IJiiEEENS2_IJiNS_17integral_constantIiLi1EEEEEELb0EEENS_8RightPadIiiLb0EEESQ_NS_7UnMergeINS2_IJiNSL_IiLi8EEEEEELb0EEENS_11PassThroughIiEEEEENS2_IJNS8_IJLi0EEEENS8_IJLi1EEEENS8_IJLi2EEEENS8_IJLi4EEEENS8_IJLi3EEEEEEENS2_IJNS8_IJLi1ELi2EEEES12_S11_NS8_IJLi5ELi6EEEENS8_IJLi7EEEEEEENS8_IJLi5ELi7ELi6EEEElEES19_NS2_IJNSI_INS2_IJSO_SQ_SQ_NSR_INS2_IJiNSL_IiLi256EEEEEELb0EEENSR_INS2_IJiNSL_IiLi128EEEEEELb0EEEEEENS2_IJSY_SZ_S10_S12_S11_EEENS2_IJS14_S12_S11_S15_NS8_IJLi7ELi8EEEEEEENS8_IJLi5ELi6ELi7ELi8EEEElEEEEES1L_NS_31BlockToCTileMap_M00_N0_M01AdaptILi256ELi128ENSI_INS2_IJSO_SQ_SQ_EEENS2_IJSY_SZ_S10_EEENS2_IJS14_S12_S11_EEENS8_IJLi3ELi4EEEElEEiEELb0EEEvPKT0_PKT1_T2_PT3_T4_T5_T6_T7_T8_T9_T10_T11_
		.amdhsa_group_segment_fixed_size 24672
		.amdhsa_private_segment_fixed_size 0
		.amdhsa_kernarg_size 364
		.amdhsa_user_sgpr_count 15
		.amdhsa_user_sgpr_dispatch_ptr 0
		.amdhsa_user_sgpr_queue_ptr 0
		.amdhsa_user_sgpr_kernarg_segment_ptr 1
		.amdhsa_user_sgpr_dispatch_id 0
		.amdhsa_user_sgpr_private_segment_size 0
		.amdhsa_wavefront_size32 1
		.amdhsa_uses_dynamic_stack 0
		.amdhsa_enable_private_segment 0
		.amdhsa_system_sgpr_workgroup_id_x 1
		.amdhsa_system_sgpr_workgroup_id_y 0
		.amdhsa_system_sgpr_workgroup_id_z 0
		.amdhsa_system_sgpr_workgroup_info 0
		.amdhsa_system_vgpr_workitem_id 0
		.amdhsa_next_free_vgpr 190
		.amdhsa_next_free_sgpr 44
		.amdhsa_reserve_vcc 1
		.amdhsa_float_round_mode_32 0
		.amdhsa_float_round_mode_16_64 0
		.amdhsa_float_denorm_mode_32 3
		.amdhsa_float_denorm_mode_16_64 3
		.amdhsa_dx10_clamp 1
		.amdhsa_ieee_mode 1
		.amdhsa_fp16_overflow 0
		.amdhsa_workgroup_processor_mode 1
		.amdhsa_memory_ordered 1
		.amdhsa_forward_progress 0
		.amdhsa_shared_vgpr_count 0
		.amdhsa_exception_fp_ieee_invalid_op 0
		.amdhsa_exception_fp_denorm_src 0
		.amdhsa_exception_fp_ieee_div_zero 0
		.amdhsa_exception_fp_ieee_overflow 0
		.amdhsa_exception_fp_ieee_underflow 0
		.amdhsa_exception_fp_ieee_inexact 0
		.amdhsa_exception_int_div_zero 0
	.end_amdhsa_kernel
	.section	.text._ZN2ck35kernel_gemm_multiple_d_xdl_cshuffleINS_34GridwiseGemmMultipleD_xdl_cshuffleIDF16_DF16_DF16_ffNS_5TupleIJDF16_EEEDF16_NS_16tensor_operation12element_wise11PassThroughES6_12AlphaBetaAddLi1ELi256ELi256ELi128ELi32ELi8ELi8ELi16ELi16ELi8ELi2ENS_8SequenceIJLi4ELi64ELi1EEEENS8_IJLi1ELi0ELi2EEEESA_Li2ELi8ELi8ELb0ELi1ES9_SA_SA_Li2ELi8ELi8ELb0ELi1ELi1ELi1ENS8_IJLi1ELi32ELi1ELi8EEEELi4ELNS_13LoopSchedulerE0ELNS_15PipelineVersionE0EDF16_Lb0EEEDF16_DF16_NS2_IJPKDF16_EEEDF16_S6_S6_S7_NS_16TensorDescriptorINS2_IJNS_5EmbedINS2_IJiiEEENS2_IJiNS_17integral_constantIiLi1EEEEEELb0EEENS_8RightPadIiiLb0EEESQ_NS_7UnMergeINS2_IJiNSL_IiLi8EEEEEELb0EEENS_11PassThroughIiEEEEENS2_IJNS8_IJLi0EEEENS8_IJLi1EEEENS8_IJLi2EEEENS8_IJLi4EEEENS8_IJLi3EEEEEEENS2_IJNS8_IJLi1ELi2EEEES12_S11_NS8_IJLi5ELi6EEEENS8_IJLi7EEEEEEENS8_IJLi5ELi7ELi6EEEElEES19_NS2_IJNSI_INS2_IJSO_SQ_SQ_NSR_INS2_IJiNSL_IiLi256EEEEEELb0EEENSR_INS2_IJiNSL_IiLi128EEEEEELb0EEEEEENS2_IJSY_SZ_S10_S12_S11_EEENS2_IJS14_S12_S11_S15_NS8_IJLi7ELi8EEEEEEENS8_IJLi5ELi6ELi7ELi8EEEElEEEEES1L_NS_31BlockToCTileMap_M00_N0_M01AdaptILi256ELi128ENSI_INS2_IJSO_SQ_SQ_EEENS2_IJSY_SZ_S10_EEENS2_IJS14_S12_S11_EEENS8_IJLi3ELi4EEEElEEiEELb0EEEvPKT0_PKT1_T2_PT3_T4_T5_T6_T7_T8_T9_T10_T11_,"axG",@progbits,_ZN2ck35kernel_gemm_multiple_d_xdl_cshuffleINS_34GridwiseGemmMultipleD_xdl_cshuffleIDF16_DF16_DF16_ffNS_5TupleIJDF16_EEEDF16_NS_16tensor_operation12element_wise11PassThroughES6_12AlphaBetaAddLi1ELi256ELi256ELi128ELi32ELi8ELi8ELi16ELi16ELi8ELi2ENS_8SequenceIJLi4ELi64ELi1EEEENS8_IJLi1ELi0ELi2EEEESA_Li2ELi8ELi8ELb0ELi1ES9_SA_SA_Li2ELi8ELi8ELb0ELi1ELi1ELi1ENS8_IJLi1ELi32ELi1ELi8EEEELi4ELNS_13LoopSchedulerE0ELNS_15PipelineVersionE0EDF16_Lb0EEEDF16_DF16_NS2_IJPKDF16_EEEDF16_S6_S6_S7_NS_16TensorDescriptorINS2_IJNS_5EmbedINS2_IJiiEEENS2_IJiNS_17integral_constantIiLi1EEEEEELb0EEENS_8RightPadIiiLb0EEESQ_NS_7UnMergeINS2_IJiNSL_IiLi8EEEEEELb0EEENS_11PassThroughIiEEEEENS2_IJNS8_IJLi0EEEENS8_IJLi1EEEENS8_IJLi2EEEENS8_IJLi4EEEENS8_IJLi3EEEEEEENS2_IJNS8_IJLi1ELi2EEEES12_S11_NS8_IJLi5ELi6EEEENS8_IJLi7EEEEEEENS8_IJLi5ELi7ELi6EEEElEES19_NS2_IJNSI_INS2_IJSO_SQ_SQ_NSR_INS2_IJiNSL_IiLi256EEEEEELb0EEENSR_INS2_IJiNSL_IiLi128EEEEEELb0EEEEEENS2_IJSY_SZ_S10_S12_S11_EEENS2_IJS14_S12_S11_S15_NS8_IJLi7ELi8EEEEEEENS8_IJLi5ELi6ELi7ELi8EEEElEEEEES1L_NS_31BlockToCTileMap_M00_N0_M01AdaptILi256ELi128ENSI_INS2_IJSO_SQ_SQ_EEENS2_IJSY_SZ_S10_EEENS2_IJS14_S12_S11_EEENS8_IJLi3ELi4EEEElEEiEELb0EEEvPKT0_PKT1_T2_PT3_T4_T5_T6_T7_T8_T9_T10_T11_,comdat
.Lfunc_end4:
	.size	_ZN2ck35kernel_gemm_multiple_d_xdl_cshuffleINS_34GridwiseGemmMultipleD_xdl_cshuffleIDF16_DF16_DF16_ffNS_5TupleIJDF16_EEEDF16_NS_16tensor_operation12element_wise11PassThroughES6_12AlphaBetaAddLi1ELi256ELi256ELi128ELi32ELi8ELi8ELi16ELi16ELi8ELi2ENS_8SequenceIJLi4ELi64ELi1EEEENS8_IJLi1ELi0ELi2EEEESA_Li2ELi8ELi8ELb0ELi1ES9_SA_SA_Li2ELi8ELi8ELb0ELi1ELi1ELi1ENS8_IJLi1ELi32ELi1ELi8EEEELi4ELNS_13LoopSchedulerE0ELNS_15PipelineVersionE0EDF16_Lb0EEEDF16_DF16_NS2_IJPKDF16_EEEDF16_S6_S6_S7_NS_16TensorDescriptorINS2_IJNS_5EmbedINS2_IJiiEEENS2_IJiNS_17integral_constantIiLi1EEEEEELb0EEENS_8RightPadIiiLb0EEESQ_NS_7UnMergeINS2_IJiNSL_IiLi8EEEEEELb0EEENS_11PassThroughIiEEEEENS2_IJNS8_IJLi0EEEENS8_IJLi1EEEENS8_IJLi2EEEENS8_IJLi4EEEENS8_IJLi3EEEEEEENS2_IJNS8_IJLi1ELi2EEEES12_S11_NS8_IJLi5ELi6EEEENS8_IJLi7EEEEEEENS8_IJLi5ELi7ELi6EEEElEES19_NS2_IJNSI_INS2_IJSO_SQ_SQ_NSR_INS2_IJiNSL_IiLi256EEEEEELb0EEENSR_INS2_IJiNSL_IiLi128EEEEEELb0EEEEEENS2_IJSY_SZ_S10_S12_S11_EEENS2_IJS14_S12_S11_S15_NS8_IJLi7ELi8EEEEEEENS8_IJLi5ELi6ELi7ELi8EEEElEEEEES1L_NS_31BlockToCTileMap_M00_N0_M01AdaptILi256ELi128ENSI_INS2_IJSO_SQ_SQ_EEENS2_IJSY_SZ_S10_EEENS2_IJS14_S12_S11_EEENS8_IJLi3ELi4EEEElEEiEELb0EEEvPKT0_PKT1_T2_PT3_T4_T5_T6_T7_T8_T9_T10_T11_, .Lfunc_end4-_ZN2ck35kernel_gemm_multiple_d_xdl_cshuffleINS_34GridwiseGemmMultipleD_xdl_cshuffleIDF16_DF16_DF16_ffNS_5TupleIJDF16_EEEDF16_NS_16tensor_operation12element_wise11PassThroughES6_12AlphaBetaAddLi1ELi256ELi256ELi128ELi32ELi8ELi8ELi16ELi16ELi8ELi2ENS_8SequenceIJLi4ELi64ELi1EEEENS8_IJLi1ELi0ELi2EEEESA_Li2ELi8ELi8ELb0ELi1ES9_SA_SA_Li2ELi8ELi8ELb0ELi1ELi1ELi1ENS8_IJLi1ELi32ELi1ELi8EEEELi4ELNS_13LoopSchedulerE0ELNS_15PipelineVersionE0EDF16_Lb0EEEDF16_DF16_NS2_IJPKDF16_EEEDF16_S6_S6_S7_NS_16TensorDescriptorINS2_IJNS_5EmbedINS2_IJiiEEENS2_IJiNS_17integral_constantIiLi1EEEEEELb0EEENS_8RightPadIiiLb0EEESQ_NS_7UnMergeINS2_IJiNSL_IiLi8EEEEEELb0EEENS_11PassThroughIiEEEEENS2_IJNS8_IJLi0EEEENS8_IJLi1EEEENS8_IJLi2EEEENS8_IJLi4EEEENS8_IJLi3EEEEEEENS2_IJNS8_IJLi1ELi2EEEES12_S11_NS8_IJLi5ELi6EEEENS8_IJLi7EEEEEEENS8_IJLi5ELi7ELi6EEEElEES19_NS2_IJNSI_INS2_IJSO_SQ_SQ_NSR_INS2_IJiNSL_IiLi256EEEEEELb0EEENSR_INS2_IJiNSL_IiLi128EEEEEELb0EEEEEENS2_IJSY_SZ_S10_S12_S11_EEENS2_IJS14_S12_S11_S15_NS8_IJLi7ELi8EEEEEEENS8_IJLi5ELi6ELi7ELi8EEEElEEEEES1L_NS_31BlockToCTileMap_M00_N0_M01AdaptILi256ELi128ENSI_INS2_IJSO_SQ_SQ_EEENS2_IJSY_SZ_S10_EEENS2_IJS14_S12_S11_EEENS8_IJLi3ELi4EEEElEEiEELb0EEEvPKT0_PKT1_T2_PT3_T4_T5_T6_T7_T8_T9_T10_T11_
                                        ; -- End function
	.section	.AMDGPU.csdata,"",@progbits
; Kernel info:
; codeLenInByte = 8956
; NumSgprs: 46
; NumVgprs: 190
; ScratchSize: 0
; MemoryBound: 0
; FloatMode: 240
; IeeeMode: 1
; LDSByteSize: 24672 bytes/workgroup (compile time only)
; SGPRBlocks: 5
; VGPRBlocks: 23
; NumSGPRsForWavesPerEU: 46
; NumVGPRsForWavesPerEU: 190
; Occupancy: 8
; WaveLimiterHint : 0
; COMPUTE_PGM_RSRC2:SCRATCH_EN: 0
; COMPUTE_PGM_RSRC2:USER_SGPR: 15
; COMPUTE_PGM_RSRC2:TRAP_HANDLER: 0
; COMPUTE_PGM_RSRC2:TGID_X_EN: 1
; COMPUTE_PGM_RSRC2:TGID_Y_EN: 0
; COMPUTE_PGM_RSRC2:TGID_Z_EN: 0
; COMPUTE_PGM_RSRC2:TIDIG_COMP_CNT: 0
	.text
	.p2alignl 7, 3214868480
	.fill 96, 4, 3214868480
	.type	__hip_cuid_2540d3bbec7c3b92,@object ; @__hip_cuid_2540d3bbec7c3b92
	.section	.bss,"aw",@nobits
	.globl	__hip_cuid_2540d3bbec7c3b92
__hip_cuid_2540d3bbec7c3b92:
	.byte	0                               ; 0x0
	.size	__hip_cuid_2540d3bbec7c3b92, 1

	.ident	"AMD clang version 19.0.0git (https://github.com/RadeonOpenCompute/llvm-project roc-6.4.0 25133 c7fe45cf4b819c5991fe208aaa96edf142730f1d)"
	.section	".note.GNU-stack","",@progbits
	.addrsig
	.addrsig_sym __hip_cuid_2540d3bbec7c3b92
	.amdgpu_metadata
---
amdhsa.kernels:
  - .args:           []
    .group_segment_fixed_size: 0
    .kernarg_segment_align: 4
    .kernarg_segment_size: 0
    .language:       OpenCL C
    .language_version:
      - 2
      - 0
    .max_flat_workgroup_size: 1024
    .name:           _ZN2ckL12flush_icacheEv
    .private_segment_fixed_size: 0
    .sgpr_count:     0
    .sgpr_spill_count: 0
    .symbol:         _ZN2ckL12flush_icacheEv.kd
    .uniform_work_group_size: 1
    .uses_dynamic_stack: false
    .vgpr_count:     0
    .vgpr_spill_count: 0
    .wavefront_size: 32
    .workgroup_processor_mode: 1
  - .args:
      - .actual_access:  read_only
        .address_space:  global
        .offset:         0
        .size:           8
        .value_kind:     global_buffer
      - .actual_access:  read_only
        .address_space:  global
        .offset:         8
        .size:           8
        .value_kind:     global_buffer
      - .address_space:  global
        .offset:         16
        .size:           8
        .value_kind:     global_buffer
      - .actual_access:  read_only
        .address_space:  global
        .offset:         24
        .size:           8
        .value_kind:     global_buffer
      - .offset:         32
        .size:           1
        .value_kind:     by_value
      - .offset:         33
        .size:           1
        .value_kind:     by_value
      - .offset:         36
        .size:           8
        .value_kind:     by_value
      - .offset:         48
        .size:           72
        .value_kind:     by_value
      - .offset:         120
        .size:           72
        .value_kind:     by_value
      - .offset:         192
        .size:           80
        .value_kind:     by_value
      - .offset:         272
        .size:           80
        .value_kind:     by_value
      - .offset:         352
        .size:           12
        .value_kind:     by_value
    .group_segment_fixed_size: 0
    .kernarg_segment_align: 8
    .kernarg_segment_size: 364
    .language:       OpenCL C
    .language_version:
      - 2
      - 0
    .max_flat_workgroup_size: 256
    .name:           _ZN2ck35kernel_gemm_multiple_d_xdl_cshuffleINS_34GridwiseGemmMultipleD_xdl_cshuffleIDF16_DF16_DF16_ffNS_5TupleIJDF16_EEEDF16_NS_16tensor_operation12element_wise11PassThroughES6_12AlphaBetaAddLi1ELi256ELi256ELi128ELi32ELi8ELi8ELi16ELi16ELi8ELi4ENS_8SequenceIJLi4ELi64ELi1EEEENS8_IJLi1ELi0ELi2EEEESA_Li2ELi8ELi8ELb0ELi1ES9_SA_SA_Li2ELi8ELi8ELb0ELi1ELi1ELi1ENS8_IJLi1ELi32ELi1ELi8EEEELi4ELNS_13LoopSchedulerE0ELNS_15PipelineVersionE0EDF16_Lb0EEEDF16_DF16_NS2_IJPKDF16_EEEDF16_S6_S6_S7_NS_16TensorDescriptorINS2_IJNS_5EmbedINS2_IJiiEEENS2_IJiNS_17integral_constantIiLi1EEEEEELb0EEENS_8RightPadIiiLb0EEESQ_NS_7UnMergeINS2_IJiNSL_IiLi8EEEEEELb0EEENS_11PassThroughIiEEEEENS2_IJNS8_IJLi0EEEENS8_IJLi1EEEENS8_IJLi2EEEENS8_IJLi4EEEENS8_IJLi3EEEEEEENS2_IJNS8_IJLi1ELi2EEEES12_S11_NS8_IJLi5ELi6EEEENS8_IJLi7EEEEEEENS8_IJLi5ELi7ELi6EEEElEES19_NS2_IJNSI_INS2_IJSO_SQ_SQ_NSR_INS2_IJiNSL_IiLi256EEEEEELb0EEENSR_INS2_IJiNSL_IiLi128EEEEEELb0EEEEEENS2_IJSY_SZ_S10_S12_S11_EEENS2_IJS14_S12_S11_S15_NS8_IJLi7ELi8EEEEEEENS8_IJLi5ELi6ELi7ELi8EEEElEEEEES1L_NS_31BlockToCTileMap_M00_N0_M01AdaptILi256ELi128ENSI_INS2_IJSO_SQ_SQ_EEENS2_IJSY_SZ_S10_EEENS2_IJS14_S12_S11_EEENS8_IJLi3ELi4EEEElEEiEELb1EEEvPKT0_PKT1_T2_PT3_T4_T5_T6_T7_T8_T9_T10_T11_
    .private_segment_fixed_size: 0
    .sgpr_count:     0
    .sgpr_spill_count: 0
    .symbol:         _ZN2ck35kernel_gemm_multiple_d_xdl_cshuffleINS_34GridwiseGemmMultipleD_xdl_cshuffleIDF16_DF16_DF16_ffNS_5TupleIJDF16_EEEDF16_NS_16tensor_operation12element_wise11PassThroughES6_12AlphaBetaAddLi1ELi256ELi256ELi128ELi32ELi8ELi8ELi16ELi16ELi8ELi4ENS_8SequenceIJLi4ELi64ELi1EEEENS8_IJLi1ELi0ELi2EEEESA_Li2ELi8ELi8ELb0ELi1ES9_SA_SA_Li2ELi8ELi8ELb0ELi1ELi1ELi1ENS8_IJLi1ELi32ELi1ELi8EEEELi4ELNS_13LoopSchedulerE0ELNS_15PipelineVersionE0EDF16_Lb0EEEDF16_DF16_NS2_IJPKDF16_EEEDF16_S6_S6_S7_NS_16TensorDescriptorINS2_IJNS_5EmbedINS2_IJiiEEENS2_IJiNS_17integral_constantIiLi1EEEEEELb0EEENS_8RightPadIiiLb0EEESQ_NS_7UnMergeINS2_IJiNSL_IiLi8EEEEEELb0EEENS_11PassThroughIiEEEEENS2_IJNS8_IJLi0EEEENS8_IJLi1EEEENS8_IJLi2EEEENS8_IJLi4EEEENS8_IJLi3EEEEEEENS2_IJNS8_IJLi1ELi2EEEES12_S11_NS8_IJLi5ELi6EEEENS8_IJLi7EEEEEEENS8_IJLi5ELi7ELi6EEEElEES19_NS2_IJNSI_INS2_IJSO_SQ_SQ_NSR_INS2_IJiNSL_IiLi256EEEEEELb0EEENSR_INS2_IJiNSL_IiLi128EEEEEELb0EEEEEENS2_IJSY_SZ_S10_S12_S11_EEENS2_IJS14_S12_S11_S15_NS8_IJLi7ELi8EEEEEEENS8_IJLi5ELi6ELi7ELi8EEEElEEEEES1L_NS_31BlockToCTileMap_M00_N0_M01AdaptILi256ELi128ENSI_INS2_IJSO_SQ_SQ_EEENS2_IJSY_SZ_S10_EEENS2_IJS14_S12_S11_EEENS8_IJLi3ELi4EEEElEEiEELb1EEEvPKT0_PKT1_T2_PT3_T4_T5_T6_T7_T8_T9_T10_T11_.kd
    .uniform_work_group_size: 1
    .uses_dynamic_stack: false
    .vgpr_count:     0
    .vgpr_spill_count: 0
    .wavefront_size: 32
    .workgroup_processor_mode: 1
  - .args:
      - .actual_access:  read_only
        .address_space:  global
        .offset:         0
        .size:           8
        .value_kind:     global_buffer
      - .actual_access:  read_only
        .address_space:  global
        .offset:         8
        .size:           8
        .value_kind:     global_buffer
      - .address_space:  global
        .offset:         16
        .size:           8
        .value_kind:     global_buffer
      - .actual_access:  read_only
        .address_space:  global
        .offset:         24
        .size:           8
        .value_kind:     global_buffer
      - .offset:         32
        .size:           1
        .value_kind:     by_value
      - .offset:         33
        .size:           1
        .value_kind:     by_value
      - .offset:         36
        .size:           8
        .value_kind:     by_value
      - .offset:         48
        .size:           72
        .value_kind:     by_value
      - .offset:         120
        .size:           72
        .value_kind:     by_value
      - .offset:         192
        .size:           80
        .value_kind:     by_value
      - .offset:         272
        .size:           80
        .value_kind:     by_value
      - .offset:         352
        .size:           12
        .value_kind:     by_value
    .group_segment_fixed_size: 0
    .kernarg_segment_align: 8
    .kernarg_segment_size: 364
    .language:       OpenCL C
    .language_version:
      - 2
      - 0
    .max_flat_workgroup_size: 256
    .name:           _ZN2ck35kernel_gemm_multiple_d_xdl_cshuffleINS_34GridwiseGemmMultipleD_xdl_cshuffleIDF16_DF16_DF16_ffNS_5TupleIJDF16_EEEDF16_NS_16tensor_operation12element_wise11PassThroughES6_12AlphaBetaAddLi1ELi256ELi256ELi128ELi32ELi8ELi8ELi16ELi16ELi8ELi4ENS_8SequenceIJLi4ELi64ELi1EEEENS8_IJLi1ELi0ELi2EEEESA_Li2ELi8ELi8ELb0ELi1ES9_SA_SA_Li2ELi8ELi8ELb0ELi1ELi1ELi1ENS8_IJLi1ELi32ELi1ELi8EEEELi4ELNS_13LoopSchedulerE0ELNS_15PipelineVersionE0EDF16_Lb0EEEDF16_DF16_NS2_IJPKDF16_EEEDF16_S6_S6_S7_NS_16TensorDescriptorINS2_IJNS_5EmbedINS2_IJiiEEENS2_IJiNS_17integral_constantIiLi1EEEEEELb0EEENS_8RightPadIiiLb0EEESQ_NS_7UnMergeINS2_IJiNSL_IiLi8EEEEEELb0EEENS_11PassThroughIiEEEEENS2_IJNS8_IJLi0EEEENS8_IJLi1EEEENS8_IJLi2EEEENS8_IJLi4EEEENS8_IJLi3EEEEEEENS2_IJNS8_IJLi1ELi2EEEES12_S11_NS8_IJLi5ELi6EEEENS8_IJLi7EEEEEEENS8_IJLi5ELi7ELi6EEEElEES19_NS2_IJNSI_INS2_IJSO_SQ_SQ_NSR_INS2_IJiNSL_IiLi256EEEEEELb0EEENSR_INS2_IJiNSL_IiLi128EEEEEELb0EEEEEENS2_IJSY_SZ_S10_S12_S11_EEENS2_IJS14_S12_S11_S15_NS8_IJLi7ELi8EEEEEEENS8_IJLi5ELi6ELi7ELi8EEEElEEEEES1L_NS_31BlockToCTileMap_M00_N0_M01AdaptILi256ELi128ENSI_INS2_IJSO_SQ_SQ_EEENS2_IJSY_SZ_S10_EEENS2_IJS14_S12_S11_EEENS8_IJLi3ELi4EEEElEEiEELb0EEEvPKT0_PKT1_T2_PT3_T4_T5_T6_T7_T8_T9_T10_T11_
    .private_segment_fixed_size: 0
    .sgpr_count:     0
    .sgpr_spill_count: 0
    .symbol:         _ZN2ck35kernel_gemm_multiple_d_xdl_cshuffleINS_34GridwiseGemmMultipleD_xdl_cshuffleIDF16_DF16_DF16_ffNS_5TupleIJDF16_EEEDF16_NS_16tensor_operation12element_wise11PassThroughES6_12AlphaBetaAddLi1ELi256ELi256ELi128ELi32ELi8ELi8ELi16ELi16ELi8ELi4ENS_8SequenceIJLi4ELi64ELi1EEEENS8_IJLi1ELi0ELi2EEEESA_Li2ELi8ELi8ELb0ELi1ES9_SA_SA_Li2ELi8ELi8ELb0ELi1ELi1ELi1ENS8_IJLi1ELi32ELi1ELi8EEEELi4ELNS_13LoopSchedulerE0ELNS_15PipelineVersionE0EDF16_Lb0EEEDF16_DF16_NS2_IJPKDF16_EEEDF16_S6_S6_S7_NS_16TensorDescriptorINS2_IJNS_5EmbedINS2_IJiiEEENS2_IJiNS_17integral_constantIiLi1EEEEEELb0EEENS_8RightPadIiiLb0EEESQ_NS_7UnMergeINS2_IJiNSL_IiLi8EEEEEELb0EEENS_11PassThroughIiEEEEENS2_IJNS8_IJLi0EEEENS8_IJLi1EEEENS8_IJLi2EEEENS8_IJLi4EEEENS8_IJLi3EEEEEEENS2_IJNS8_IJLi1ELi2EEEES12_S11_NS8_IJLi5ELi6EEEENS8_IJLi7EEEEEEENS8_IJLi5ELi7ELi6EEEElEES19_NS2_IJNSI_INS2_IJSO_SQ_SQ_NSR_INS2_IJiNSL_IiLi256EEEEEELb0EEENSR_INS2_IJiNSL_IiLi128EEEEEELb0EEEEEENS2_IJSY_SZ_S10_S12_S11_EEENS2_IJS14_S12_S11_S15_NS8_IJLi7ELi8EEEEEEENS8_IJLi5ELi6ELi7ELi8EEEElEEEEES1L_NS_31BlockToCTileMap_M00_N0_M01AdaptILi256ELi128ENSI_INS2_IJSO_SQ_SQ_EEENS2_IJSY_SZ_S10_EEENS2_IJS14_S12_S11_EEENS8_IJLi3ELi4EEEElEEiEELb0EEEvPKT0_PKT1_T2_PT3_T4_T5_T6_T7_T8_T9_T10_T11_.kd
    .uniform_work_group_size: 1
    .uses_dynamic_stack: false
    .vgpr_count:     0
    .vgpr_spill_count: 0
    .wavefront_size: 32
    .workgroup_processor_mode: 1
  - .args:
      - .address_space:  global
        .offset:         0
        .size:           8
        .value_kind:     global_buffer
      - .address_space:  global
        .offset:         8
        .size:           8
        .value_kind:     global_buffer
      - .address_space:  global
        .offset:         16
        .size:           8
        .value_kind:     global_buffer
      - .address_space:  global
        .offset:         24
        .size:           8
        .value_kind:     global_buffer
      - .offset:         32
        .size:           1
        .value_kind:     by_value
      - .offset:         33
        .size:           1
        .value_kind:     by_value
      - .offset:         36
        .size:           8
        .value_kind:     by_value
      - .offset:         48
        .size:           72
        .value_kind:     by_value
      - .offset:         120
        .size:           72
        .value_kind:     by_value
      - .offset:         192
        .size:           80
        .value_kind:     by_value
      - .offset:         272
        .size:           80
        .value_kind:     by_value
      - .offset:         352
        .size:           12
        .value_kind:     by_value
    .group_segment_fixed_size: 24672
    .kernarg_segment_align: 8
    .kernarg_segment_size: 364
    .language:       OpenCL C
    .language_version:
      - 2
      - 0
    .max_flat_workgroup_size: 256
    .name:           _ZN2ck35kernel_gemm_multiple_d_xdl_cshuffleINS_34GridwiseGemmMultipleD_xdl_cshuffleIDF16_DF16_DF16_ffNS_5TupleIJDF16_EEEDF16_NS_16tensor_operation12element_wise11PassThroughES6_12AlphaBetaAddLi1ELi256ELi256ELi128ELi32ELi8ELi8ELi16ELi16ELi8ELi2ENS_8SequenceIJLi4ELi64ELi1EEEENS8_IJLi1ELi0ELi2EEEESA_Li2ELi8ELi8ELb0ELi1ES9_SA_SA_Li2ELi8ELi8ELb0ELi1ELi1ELi1ENS8_IJLi1ELi32ELi1ELi8EEEELi4ELNS_13LoopSchedulerE0ELNS_15PipelineVersionE0EDF16_Lb0EEEDF16_DF16_NS2_IJPKDF16_EEEDF16_S6_S6_S7_NS_16TensorDescriptorINS2_IJNS_5EmbedINS2_IJiiEEENS2_IJiNS_17integral_constantIiLi1EEEEEELb0EEENS_8RightPadIiiLb0EEESQ_NS_7UnMergeINS2_IJiNSL_IiLi8EEEEEELb0EEENS_11PassThroughIiEEEEENS2_IJNS8_IJLi0EEEENS8_IJLi1EEEENS8_IJLi2EEEENS8_IJLi4EEEENS8_IJLi3EEEEEEENS2_IJNS8_IJLi1ELi2EEEES12_S11_NS8_IJLi5ELi6EEEENS8_IJLi7EEEEEEENS8_IJLi5ELi7ELi6EEEElEES19_NS2_IJNSI_INS2_IJSO_SQ_SQ_NSR_INS2_IJiNSL_IiLi256EEEEEELb0EEENSR_INS2_IJiNSL_IiLi128EEEEEELb0EEEEEENS2_IJSY_SZ_S10_S12_S11_EEENS2_IJS14_S12_S11_S15_NS8_IJLi7ELi8EEEEEEENS8_IJLi5ELi6ELi7ELi8EEEElEEEEES1L_NS_31BlockToCTileMap_M00_N0_M01AdaptILi256ELi128ENSI_INS2_IJSO_SQ_SQ_EEENS2_IJSY_SZ_S10_EEENS2_IJS14_S12_S11_EEENS8_IJLi3ELi4EEEElEEiEELb1EEEvPKT0_PKT1_T2_PT3_T4_T5_T6_T7_T8_T9_T10_T11_
    .private_segment_fixed_size: 0
    .sgpr_count:     39
    .sgpr_spill_count: 0
    .symbol:         _ZN2ck35kernel_gemm_multiple_d_xdl_cshuffleINS_34GridwiseGemmMultipleD_xdl_cshuffleIDF16_DF16_DF16_ffNS_5TupleIJDF16_EEEDF16_NS_16tensor_operation12element_wise11PassThroughES6_12AlphaBetaAddLi1ELi256ELi256ELi128ELi32ELi8ELi8ELi16ELi16ELi8ELi2ENS_8SequenceIJLi4ELi64ELi1EEEENS8_IJLi1ELi0ELi2EEEESA_Li2ELi8ELi8ELb0ELi1ES9_SA_SA_Li2ELi8ELi8ELb0ELi1ELi1ELi1ENS8_IJLi1ELi32ELi1ELi8EEEELi4ELNS_13LoopSchedulerE0ELNS_15PipelineVersionE0EDF16_Lb0EEEDF16_DF16_NS2_IJPKDF16_EEEDF16_S6_S6_S7_NS_16TensorDescriptorINS2_IJNS_5EmbedINS2_IJiiEEENS2_IJiNS_17integral_constantIiLi1EEEEEELb0EEENS_8RightPadIiiLb0EEESQ_NS_7UnMergeINS2_IJiNSL_IiLi8EEEEEELb0EEENS_11PassThroughIiEEEEENS2_IJNS8_IJLi0EEEENS8_IJLi1EEEENS8_IJLi2EEEENS8_IJLi4EEEENS8_IJLi3EEEEEEENS2_IJNS8_IJLi1ELi2EEEES12_S11_NS8_IJLi5ELi6EEEENS8_IJLi7EEEEEEENS8_IJLi5ELi7ELi6EEEElEES19_NS2_IJNSI_INS2_IJSO_SQ_SQ_NSR_INS2_IJiNSL_IiLi256EEEEEELb0EEENSR_INS2_IJiNSL_IiLi128EEEEEELb0EEEEEENS2_IJSY_SZ_S10_S12_S11_EEENS2_IJS14_S12_S11_S15_NS8_IJLi7ELi8EEEEEEENS8_IJLi5ELi6ELi7ELi8EEEElEEEEES1L_NS_31BlockToCTileMap_M00_N0_M01AdaptILi256ELi128ENSI_INS2_IJSO_SQ_SQ_EEENS2_IJSY_SZ_S10_EEENS2_IJS14_S12_S11_EEENS8_IJLi3ELi4EEEElEEiEELb1EEEvPKT0_PKT1_T2_PT3_T4_T5_T6_T7_T8_T9_T10_T11_.kd
    .uniform_work_group_size: 1
    .uses_dynamic_stack: false
    .vgpr_count:     184
    .vgpr_spill_count: 0
    .wavefront_size: 32
    .workgroup_processor_mode: 1
  - .args:
      - .address_space:  global
        .offset:         0
        .size:           8
        .value_kind:     global_buffer
      - .address_space:  global
        .offset:         8
        .size:           8
        .value_kind:     global_buffer
      - .address_space:  global
        .offset:         16
        .size:           8
        .value_kind:     global_buffer
      - .address_space:  global
        .offset:         24
        .size:           8
        .value_kind:     global_buffer
      - .offset:         32
        .size:           1
        .value_kind:     by_value
      - .offset:         33
        .size:           1
        .value_kind:     by_value
      - .offset:         36
        .size:           8
        .value_kind:     by_value
      - .offset:         48
        .size:           72
        .value_kind:     by_value
      - .offset:         120
        .size:           72
        .value_kind:     by_value
      - .offset:         192
        .size:           80
        .value_kind:     by_value
      - .offset:         272
        .size:           80
        .value_kind:     by_value
      - .offset:         352
        .size:           12
        .value_kind:     by_value
    .group_segment_fixed_size: 24672
    .kernarg_segment_align: 8
    .kernarg_segment_size: 364
    .language:       OpenCL C
    .language_version:
      - 2
      - 0
    .max_flat_workgroup_size: 256
    .name:           _ZN2ck35kernel_gemm_multiple_d_xdl_cshuffleINS_34GridwiseGemmMultipleD_xdl_cshuffleIDF16_DF16_DF16_ffNS_5TupleIJDF16_EEEDF16_NS_16tensor_operation12element_wise11PassThroughES6_12AlphaBetaAddLi1ELi256ELi256ELi128ELi32ELi8ELi8ELi16ELi16ELi8ELi2ENS_8SequenceIJLi4ELi64ELi1EEEENS8_IJLi1ELi0ELi2EEEESA_Li2ELi8ELi8ELb0ELi1ES9_SA_SA_Li2ELi8ELi8ELb0ELi1ELi1ELi1ENS8_IJLi1ELi32ELi1ELi8EEEELi4ELNS_13LoopSchedulerE0ELNS_15PipelineVersionE0EDF16_Lb0EEEDF16_DF16_NS2_IJPKDF16_EEEDF16_S6_S6_S7_NS_16TensorDescriptorINS2_IJNS_5EmbedINS2_IJiiEEENS2_IJiNS_17integral_constantIiLi1EEEEEELb0EEENS_8RightPadIiiLb0EEESQ_NS_7UnMergeINS2_IJiNSL_IiLi8EEEEEELb0EEENS_11PassThroughIiEEEEENS2_IJNS8_IJLi0EEEENS8_IJLi1EEEENS8_IJLi2EEEENS8_IJLi4EEEENS8_IJLi3EEEEEEENS2_IJNS8_IJLi1ELi2EEEES12_S11_NS8_IJLi5ELi6EEEENS8_IJLi7EEEEEEENS8_IJLi5ELi7ELi6EEEElEES19_NS2_IJNSI_INS2_IJSO_SQ_SQ_NSR_INS2_IJiNSL_IiLi256EEEEEELb0EEENSR_INS2_IJiNSL_IiLi128EEEEEELb0EEEEEENS2_IJSY_SZ_S10_S12_S11_EEENS2_IJS14_S12_S11_S15_NS8_IJLi7ELi8EEEEEEENS8_IJLi5ELi6ELi7ELi8EEEElEEEEES1L_NS_31BlockToCTileMap_M00_N0_M01AdaptILi256ELi128ENSI_INS2_IJSO_SQ_SQ_EEENS2_IJSY_SZ_S10_EEENS2_IJS14_S12_S11_EEENS8_IJLi3ELi4EEEElEEiEELb0EEEvPKT0_PKT1_T2_PT3_T4_T5_T6_T7_T8_T9_T10_T11_
    .private_segment_fixed_size: 0
    .sgpr_count:     46
    .sgpr_spill_count: 0
    .symbol:         _ZN2ck35kernel_gemm_multiple_d_xdl_cshuffleINS_34GridwiseGemmMultipleD_xdl_cshuffleIDF16_DF16_DF16_ffNS_5TupleIJDF16_EEEDF16_NS_16tensor_operation12element_wise11PassThroughES6_12AlphaBetaAddLi1ELi256ELi256ELi128ELi32ELi8ELi8ELi16ELi16ELi8ELi2ENS_8SequenceIJLi4ELi64ELi1EEEENS8_IJLi1ELi0ELi2EEEESA_Li2ELi8ELi8ELb0ELi1ES9_SA_SA_Li2ELi8ELi8ELb0ELi1ELi1ELi1ENS8_IJLi1ELi32ELi1ELi8EEEELi4ELNS_13LoopSchedulerE0ELNS_15PipelineVersionE0EDF16_Lb0EEEDF16_DF16_NS2_IJPKDF16_EEEDF16_S6_S6_S7_NS_16TensorDescriptorINS2_IJNS_5EmbedINS2_IJiiEEENS2_IJiNS_17integral_constantIiLi1EEEEEELb0EEENS_8RightPadIiiLb0EEESQ_NS_7UnMergeINS2_IJiNSL_IiLi8EEEEEELb0EEENS_11PassThroughIiEEEEENS2_IJNS8_IJLi0EEEENS8_IJLi1EEEENS8_IJLi2EEEENS8_IJLi4EEEENS8_IJLi3EEEEEEENS2_IJNS8_IJLi1ELi2EEEES12_S11_NS8_IJLi5ELi6EEEENS8_IJLi7EEEEEEENS8_IJLi5ELi7ELi6EEEElEES19_NS2_IJNSI_INS2_IJSO_SQ_SQ_NSR_INS2_IJiNSL_IiLi256EEEEEELb0EEENSR_INS2_IJiNSL_IiLi128EEEEEELb0EEEEEENS2_IJSY_SZ_S10_S12_S11_EEENS2_IJS14_S12_S11_S15_NS8_IJLi7ELi8EEEEEEENS8_IJLi5ELi6ELi7ELi8EEEElEEEEES1L_NS_31BlockToCTileMap_M00_N0_M01AdaptILi256ELi128ENSI_INS2_IJSO_SQ_SQ_EEENS2_IJSY_SZ_S10_EEENS2_IJS14_S12_S11_EEENS8_IJLi3ELi4EEEElEEiEELb0EEEvPKT0_PKT1_T2_PT3_T4_T5_T6_T7_T8_T9_T10_T11_.kd
    .uniform_work_group_size: 1
    .uses_dynamic_stack: false
    .vgpr_count:     190
    .vgpr_spill_count: 0
    .wavefront_size: 32
    .workgroup_processor_mode: 1
amdhsa.target:   amdgcn-amd-amdhsa--gfx1100
amdhsa.version:
  - 1
  - 2
...

	.end_amdgpu_metadata
